;; amdgpu-corpus repo=ROCm/rocFFT kind=compiled arch=gfx1030 opt=O3
	.text
	.amdgcn_target "amdgcn-amd-amdhsa--gfx1030"
	.amdhsa_code_object_version 6
	.protected	bluestein_single_fwd_len770_dim1_half_op_CI_CI ; -- Begin function bluestein_single_fwd_len770_dim1_half_op_CI_CI
	.globl	bluestein_single_fwd_len770_dim1_half_op_CI_CI
	.p2align	8
	.type	bluestein_single_fwd_len770_dim1_half_op_CI_CI,@function
bluestein_single_fwd_len770_dim1_half_op_CI_CI: ; @bluestein_single_fwd_len770_dim1_half_op_CI_CI
; %bb.0:
	s_load_dwordx4 s[0:3], s[4:5], 0x28
	v_mul_u32_u24_e32 v1, 0x254, v0
	v_mov_b32_e32 v13, 0
	v_lshrrev_b32_e32 v1, 16, v1
	v_lshl_add_u32 v12, s6, 1, v1
	s_waitcnt lgkmcnt(0)
	v_cmp_gt_u64_e32 vcc_lo, s[0:1], v[12:13]
	s_and_saveexec_b32 s0, vcc_lo
	s_cbranch_execz .LBB0_23
; %bb.1:
	v_mul_lo_u16 v2, 0x6e, v1
	s_clause 0x1
	s_load_dwordx2 s[10:11], s[4:5], 0x0
	s_load_dwordx2 s[8:9], s[4:5], 0x38
	v_and_b32_e32 v1, 1, v1
	v_sub_nc_u16 v0, v0, v2
	v_cmp_eq_u32_e32 vcc_lo, 1, v1
	v_and_b32_e32 v27, 0xffff, v0
	v_cndmask_b32_e64 v19, 0, 0x302, vcc_lo
	v_cmp_gt_u16_e32 vcc_lo, 0x46, v0
	v_lshlrev_b32_e32 v28, 2, v27
	v_lshlrev_b32_e32 v30, 2, v19
	s_and_saveexec_b32 s1, vcc_lo
	s_cbranch_execz .LBB0_3
; %bb.2:
	s_load_dwordx2 s[6:7], s[4:5], 0x18
	v_lshl_add_u32 v26, v27, 2, v30
	s_waitcnt lgkmcnt(0)
	s_load_dwordx4 s[12:15], s[6:7], 0x0
	s_clause 0x1
	global_load_dword v8, v28, s[10:11]
	global_load_dword v9, v28, s[10:11] offset:280
	s_waitcnt lgkmcnt(0)
	v_mad_u64_u32 v[0:1], null, s14, v12, 0
	v_mad_u64_u32 v[2:3], null, s12, v27, 0
	s_mul_i32 s6, s13, 0x118
	s_mul_hi_u32 s7, s12, 0x118
	s_add_i32 s7, s7, s6
	v_mad_u64_u32 v[4:5], null, s15, v12, v[1:2]
	v_mad_u64_u32 v[5:6], null, s13, v27, v[3:4]
	v_mov_b32_e32 v1, v4
	v_add_co_u32 v6, s0, s10, v28
	v_add_co_ci_u32_e64 v7, null, s11, 0, s0
	v_lshlrev_b64 v[0:1], 2, v[0:1]
	v_mov_b32_e32 v3, v5
	v_add_co_u32 v0, s0, s2, v0
	v_lshlrev_b64 v[2:3], 2, v[2:3]
	v_add_co_ci_u32_e64 v1, s0, s3, v1, s0
	s_mul_i32 s2, s12, 0x118
	v_add_co_u32 v0, s0, v0, v2
	v_add_co_ci_u32_e64 v1, s0, v1, v3, s0
	v_add_co_u32 v2, s0, v0, s2
	v_add_co_ci_u32_e64 v3, s0, s7, v1, s0
	global_load_dword v10, v[0:1], off
	v_add_co_u32 v4, s0, v2, s2
	v_add_co_ci_u32_e64 v5, s0, s7, v3, s0
	s_clause 0x1
	global_load_dword v11, v[2:3], off
	global_load_dword v13, v[4:5], off
	v_add_co_u32 v0, s0, v4, s2
	v_add_co_ci_u32_e64 v1, s0, s7, v5, s0
	v_add_co_u32 v2, s0, v0, s2
	v_add_co_ci_u32_e64 v3, s0, s7, v1, s0
	s_clause 0x5
	global_load_dword v14, v28, s[10:11] offset:560
	global_load_dword v15, v28, s[10:11] offset:840
	;; [unrolled: 1-line block ×6, first 2 shown]
	s_clause 0x1
	global_load_dword v21, v[0:1], off
	global_load_dword v22, v[2:3], off
	v_add_co_u32 v0, s0, v2, s2
	v_add_co_ci_u32_e64 v1, s0, s7, v3, s0
	v_add_co_u32 v2, s0, 0x800, v6
	v_add_co_ci_u32_e64 v3, s0, 0, v7, s0
	;; [unrolled: 2-line block ×3, first 2 shown]
	global_load_dword v6, v[0:1], off
	v_add_co_u32 v0, s0, v4, s2
	v_add_co_ci_u32_e64 v1, s0, s7, v5, s0
	global_load_dword v7, v[4:5], off
	v_add_co_u32 v4, s0, v0, s2
	v_add_co_ci_u32_e64 v5, s0, s7, v1, s0
	;; [unrolled: 3-line block ×4, first 2 shown]
	global_load_dword v25, v[2:3], off offset:192
	global_load_dword v0, v[0:1], off
	global_load_dword v1, v[4:5], off
	s_clause 0x1
	global_load_dword v4, v[2:3], off offset:472
	global_load_dword v2, v[2:3], off offset:752
	v_add_nc_u32_e32 v3, v30, v28
	v_add_nc_u32_e32 v29, 0x200, v3
	;; [unrolled: 1-line block ×4, first 2 shown]
	s_waitcnt vmcnt(19)
	v_lshrrev_b32_e32 v5, 16, v10
	v_mul_f16_sdwa v31, v8, v10 dst_sel:DWORD dst_unused:UNUSED_PAD src0_sel:WORD_1 src1_sel:DWORD
	v_mul_f16_sdwa v33, v8, v5 dst_sel:DWORD dst_unused:UNUSED_PAD src0_sel:WORD_1 src1_sel:DWORD
	s_waitcnt vmcnt(18)
	v_lshrrev_b32_e32 v34, 16, v11
	v_fma_f16 v5, v8, v5, -v31
	v_mul_f16_sdwa v31, v9, v11 dst_sel:DWORD dst_unused:UNUSED_PAD src0_sel:WORD_1 src1_sel:DWORD
	v_fmac_f16_e32 v33, v8, v10
	v_mul_f16_sdwa v8, v9, v34 dst_sel:DWORD dst_unused:UNUSED_PAD src0_sel:WORD_1 src1_sel:DWORD
	s_waitcnt vmcnt(17)
	v_lshrrev_b32_e32 v10, 16, v13
	v_fma_f16 v31, v9, v34, -v31
	s_waitcnt vmcnt(16)
	v_mul_f16_sdwa v36, v14, v13 dst_sel:DWORD dst_unused:UNUSED_PAD src0_sel:WORD_1 src1_sel:DWORD
	v_pack_b32_f16 v5, v33, v5
	v_fmac_f16_e32 v8, v9, v11
	s_waitcnt vmcnt(10)
	v_lshrrev_b32_e32 v11, 16, v21
	v_mul_f16_sdwa v9, v14, v10 dst_sel:DWORD dst_unused:UNUSED_PAD src0_sel:WORD_1 src1_sel:DWORD
	v_mul_f16_sdwa v33, v15, v21 dst_sel:DWORD dst_unused:UNUSED_PAD src0_sel:WORD_1 src1_sel:DWORD
	ds_write_b32 v26, v5
	v_pack_b32_f16 v5, v8, v31
	v_mul_f16_sdwa v8, v15, v11 dst_sel:DWORD dst_unused:UNUSED_PAD src0_sel:WORD_1 src1_sel:DWORD
	v_fma_f16 v10, v14, v10, -v36
	v_fmac_f16_e32 v9, v14, v13
	s_waitcnt vmcnt(9)
	v_lshrrev_b32_e32 v13, 16, v22
	v_fma_f16 v11, v15, v11, -v33
	v_fmac_f16_e32 v8, v15, v21
	v_mul_f16_sdwa v14, v16, v22 dst_sel:DWORD dst_unused:UNUSED_PAD src0_sel:WORD_1 src1_sel:DWORD
	v_pack_b32_f16 v9, v9, v10
	s_waitcnt vmcnt(8)
	v_lshrrev_b32_e32 v15, 16, v6
	v_mul_f16_sdwa v10, v16, v13 dst_sel:DWORD dst_unused:UNUSED_PAD src0_sel:WORD_1 src1_sel:DWORD
	v_mul_f16_sdwa v21, v17, v6 dst_sel:DWORD dst_unused:UNUSED_PAD src0_sel:WORD_1 src1_sel:DWORD
	v_pack_b32_f16 v8, v8, v11
	v_fma_f16 v13, v16, v13, -v14
	v_mul_f16_sdwa v11, v17, v15 dst_sel:DWORD dst_unused:UNUSED_PAD src0_sel:WORD_1 src1_sel:DWORD
	v_fmac_f16_e32 v10, v16, v22
	v_fma_f16 v14, v17, v15, -v21
	s_waitcnt vmcnt(7)
	v_lshrrev_b32_e32 v15, 16, v7
	v_mul_f16_sdwa v16, v18, v7 dst_sel:DWORD dst_unused:UNUSED_PAD src0_sel:WORD_1 src1_sel:DWORD
	v_fmac_f16_e32 v11, v17, v6
	s_waitcnt vmcnt(6)
	v_lshrrev_b32_e32 v6, 16, v23
	v_pack_b32_f16 v10, v10, v13
	v_mul_f16_sdwa v13, v18, v15 dst_sel:DWORD dst_unused:UNUSED_PAD src0_sel:WORD_1 src1_sel:DWORD
	v_fma_f16 v15, v18, v15, -v16
	v_mul_f16_sdwa v16, v20, v23 dst_sel:DWORD dst_unused:UNUSED_PAD src0_sel:WORD_1 src1_sel:DWORD
	v_pack_b32_f16 v11, v11, v14
	v_mul_f16_sdwa v14, v20, v6 dst_sel:DWORD dst_unused:UNUSED_PAD src0_sel:WORD_1 src1_sel:DWORD
	v_fmac_f16_e32 v13, v18, v7
	s_waitcnt vmcnt(5)
	v_lshrrev_b32_e32 v7, 16, v24
	v_fma_f16 v6, v20, v6, -v16
	s_waitcnt vmcnt(4)
	v_mul_f16_sdwa v16, v25, v24 dst_sel:DWORD dst_unused:UNUSED_PAD src0_sel:WORD_1 src1_sel:DWORD
	v_fmac_f16_e32 v14, v20, v23
	s_waitcnt vmcnt(3)
	v_lshrrev_b32_e32 v17, 16, v0
	s_waitcnt vmcnt(2)
	v_lshrrev_b32_e32 v20, 16, v1
	v_mul_f16_sdwa v18, v25, v7 dst_sel:DWORD dst_unused:UNUSED_PAD src0_sel:WORD_1 src1_sel:DWORD
	v_fma_f16 v7, v25, v7, -v16
	s_waitcnt vmcnt(1)
	v_mul_f16_sdwa v16, v4, v0 dst_sel:DWORD dst_unused:UNUSED_PAD src0_sel:WORD_1 src1_sel:DWORD
	v_mul_f16_sdwa v21, v4, v17 dst_sel:DWORD dst_unused:UNUSED_PAD src0_sel:WORD_1 src1_sel:DWORD
	s_waitcnt vmcnt(0)
	v_mul_f16_sdwa v22, v2, v1 dst_sel:DWORD dst_unused:UNUSED_PAD src0_sel:WORD_1 src1_sel:DWORD
	v_mul_f16_sdwa v23, v2, v20 dst_sel:DWORD dst_unused:UNUSED_PAD src0_sel:WORD_1 src1_sel:DWORD
	v_fmac_f16_e32 v18, v25, v24
	v_fma_f16 v16, v4, v17, -v16
	v_fmac_f16_e32 v21, v4, v0
	v_fma_f16 v0, v2, v20, -v22
	v_fmac_f16_e32 v23, v2, v1
	v_pack_b32_f16 v1, v13, v15
	v_pack_b32_f16 v2, v14, v6
	;; [unrolled: 1-line block ×5, first 2 shown]
	v_add_nc_u32_e32 v7, 0x800, v3
	ds_write2_b32 v3, v5, v9 offset0:70 offset1:140
	ds_write2_b32 v29, v8, v10 offset0:82 offset1:152
	;; [unrolled: 1-line block ×5, first 2 shown]
.LBB0_3:
	s_or_b32 exec_lo, exec_lo, s1
	v_mov_b32_e32 v0, 0
	s_waitcnt lgkmcnt(0)
	s_barrier
	buffer_gl0_inv
                                        ; implicit-def: $vgpr6
                                        ; implicit-def: $vgpr5
                                        ; implicit-def: $vgpr2
                                        ; implicit-def: $vgpr9
                                        ; implicit-def: $vgpr10
	s_and_saveexec_b32 s0, vcc_lo
	s_cbranch_execz .LBB0_5
; %bb.4:
	v_lshl_add_u32 v10, v19, 2, v28
	v_add_nc_u32_e32 v2, 0x400, v10
	v_add_nc_u32_e32 v3, 0x800, v10
	ds_read2_b32 v[0:1], v10 offset1:70
	ds_read2_b32 v[8:9], v10 offset0:140 offset1:210
	ds_read2_b32 v[4:5], v2 offset0:24 offset1:94
	ds_read2_b32 v[6:7], v2 offset0:164 offset1:234
	ds_read2_b32 v[2:3], v3 offset0:48 offset1:118
	ds_read_b32 v10, v10 offset:2800
.LBB0_5:
	s_or_b32 exec_lo, exec_lo, s0
	s_waitcnt lgkmcnt(0)
	v_pk_add_f16 v11, v1, v10 neg_lo:[0,1] neg_hi:[0,1]
	v_pk_add_f16 v14, v10, v1
	v_pk_add_f16 v1, v1, v0
	v_mov_b32_e32 v13, 0xb853
	v_mov_b32_e32 v15, 0xbb47
	v_mov_b32_e32 v25, 0xba0c
	v_pk_add_f16 v37, v8, v3 neg_lo:[0,1] neg_hi:[0,1]
	v_pk_add_f16 v1, v8, v1
	v_mul_f16_sdwa v16, v11, v13 dst_sel:DWORD dst_unused:UNUSED_PAD src0_sel:WORD_1 src1_sel:DWORD
	v_lshrrev_b32_e32 v17, 16, v14
	v_mul_f16_e32 v18, 0xb853, v11
	v_mov_b32_e32 v20, 0xbbeb
	v_pk_add_f16 v1, v9, v1
	v_mul_f16_sdwa v21, v11, v15 dst_sel:DWORD dst_unused:UNUSED_PAD src0_sel:WORD_1 src1_sel:DWORD
	v_fma_f16 v22, v14, 0x3abb, -v16
	v_mul_f16_e32 v29, 0xbbeb, v11
	v_mul_f16_sdwa v32, v11, v25 dst_sel:DWORD dst_unused:UNUSED_PAD src0_sel:WORD_1 src1_sel:DWORD
	v_pk_add_f16 v1, v4, v1
	v_mul_f16_e32 v33, 0xba0c, v11
	v_mul_f16_e32 v38, 0xb482, v11
	v_pk_add_f16 v39, v3, v8
	v_mul_f16_sdwa v15, v37, v15 dst_sel:DWORD dst_unused:UNUSED_PAD src0_sel:WORD_1 src1_sel:DWORD
	v_pk_add_f16 v1, v5, v1
	v_mov_b32_e32 v49, 0x3beb
	v_pk_add_f16 v56, v9, v2 neg_lo:[0,1] neg_hi:[0,1]
	v_pk_add_f16 v9, v2, v9
	v_fmamk_f16 v23, v17, 0x3abb, v18
	v_pk_add_f16 v1, v6, v1
	v_fmac_f16_e32 v16, 0x3abb, v14
	v_fma_f16 v18, v17, 0x3abb, -v18
	v_mul_f16_sdwa v24, v11, v20 dst_sel:DWORD dst_unused:UNUSED_PAD src0_sel:WORD_1 src1_sel:DWORD
	v_fma_f16 v26, v14, 0x36a6, -v21
	v_fmamk_f16 v34, v17, 0xb08e, v29
	v_fma_f16 v29, v17, 0xb08e, -v29
	v_fma_f16 v35, v14, 0xb93d, -v32
	v_fmamk_f16 v36, v17, 0xb93d, v33
	v_fmac_f16_e32 v32, 0xb93d, v14
	v_fma_f16 v33, v17, 0xb93d, -v33
	v_fmamk_f16 v40, v17, 0xbbad, v38
	v_lshrrev_b32_e32 v41, 16, v39
	v_mul_f16_e32 v42, 0xbb47, v37
	v_fma_f16 v17, v17, 0xbbad, -v38
	v_fma_f16 v38, v39, 0x36a6, -v15
	v_mul_f16_sdwa v43, v37, v25 dst_sel:DWORD dst_unused:UNUSED_PAD src0_sel:WORD_1 src1_sel:DWORD
	v_mov_b32_e32 v44, 0x3482
	v_mul_f16_e32 v48, 0x3482, v37
	v_mul_f16_sdwa v51, v37, v49 dst_sel:DWORD dst_unused:UNUSED_PAD src0_sel:WORD_1 src1_sel:DWORD
	v_lshrrev_b32_e32 v58, 16, v9
	v_mul_f16_e32 v59, 0xbbeb, v56
	v_pk_add_f16 v1, v7, v1
	v_pk_mul_f16 v11, 0xb482bb47, v11
	v_add_f16_e32 v22, v22, v0
	v_fmac_f16_e32 v21, 0x36a6, v14
	v_fmamk_f16 v45, v41, 0x36a6, v42
	v_fmac_f16_e32 v15, 0x36a6, v39
	v_fma_f16 v42, v41, 0x36a6, -v42
	v_fma_f16 v46, v39, 0xb93d, -v43
	v_mul_f16_sdwa v47, v37, v44 dst_sel:DWORD dst_unused:UNUSED_PAD src0_sel:WORD_1 src1_sel:DWORD
	v_fmamk_f16 v8, v41, 0xbbad, v48
	v_mul_f16_e32 v52, 0x3beb, v37
	v_fma_f16 v53, v39, 0xb08e, -v51
	v_fmac_f16_e32 v51, 0xb08e, v39
	v_mul_f16_e32 v55, 0x3853, v37
	v_pk_add_f16 v60, v7, v4
	v_pk_add_f16 v4, v4, v7 neg_lo:[0,1] neg_hi:[0,1]
	v_fmamk_f16 v7, v58, 0xb08e, v59
	v_pk_add_f16 v1, v2, v1
	v_mul_f16_sdwa v2, v56, v44 dst_sel:DWORD dst_unused:UNUSED_PAD src0_sel:WORD_1 src1_sel:DWORD
	v_fma_f16 v44, v58, 0xb08e, -v59
	v_mov_b32_e32 v59, 0x3b47
	v_pk_fma_f16 v62, 0x36a6bbad, v14, v11 op_sel:[0,0,1] op_sel_hi:[1,1,0]
	v_pk_fma_f16 v11, 0x36a6bbad, v14, v11 op_sel:[0,0,1] op_sel_hi:[1,1,0] neg_lo:[0,0,1] neg_hi:[0,0,1]
	v_add_f16_e32 v16, v16, v0
	v_add_f16_e32 v22, v38, v22
	v_mul_f16_e32 v38, 0x3b47, v56
	v_add_f16_sdwa v18, v18, v0 dst_sel:DWORD dst_unused:UNUSED_PAD src0_sel:DWORD src1_sel:WORD_1
	v_add_f16_e32 v26, v26, v0
	v_add_f16_sdwa v34, v34, v0 dst_sel:DWORD dst_unused:UNUSED_PAD src0_sel:DWORD src1_sel:WORD_1
	v_add_f16_e32 v32, v32, v0
	v_pk_mul_f16 v37, 0x3853ba0c, v37
	v_fma_f16 v31, v14, 0xb08e, -v24
	v_fmac_f16_e32 v24, 0xb08e, v14
	v_fmac_f16_e32 v43, 0xb93d, v39
	v_fmamk_f16 v54, v41, 0xb08e, v52
	v_mul_f16_sdwa v20, v56, v20 dst_sel:DWORD dst_unused:UNUSED_PAD src0_sel:WORD_1 src1_sel:DWORD
	v_mul_f16_sdwa v14, v56, v59 dst_sel:DWORD dst_unused:UNUSED_PAD src0_sel:WORD_1 src1_sel:DWORD
	v_add_f16_sdwa v23, v23, v0 dst_sel:DWORD dst_unused:UNUSED_PAD src0_sel:DWORD src1_sel:WORD_1
	v_add_f16_e32 v15, v15, v16
	v_fmamk_f16 v16, v58, 0x36a6, v38
	v_add_f16_e32 v21, v21, v0
	v_add_f16_e32 v18, v42, v18
	v_mul_f16_sdwa v42, v56, v13 dst_sel:DWORD dst_unused:UNUSED_PAD src0_sel:WORD_1 src1_sel:DWORD
	v_add_f16_e32 v26, v46, v26
	v_mul_f16_e32 v46, 0xb853, v56
	v_add_f16_e32 v8, v8, v34
	v_mul_f16_e32 v34, 0xba0c, v56
	v_add_f16_e32 v35, v35, v0
	v_add_f16_sdwa v36, v36, v0 dst_sel:DWORD dst_unused:UNUSED_PAD src0_sel:DWORD src1_sel:WORD_1
	v_pk_add_f16 v11, v11, v0
	v_add_f16_e32 v32, v51, v32
	v_pk_fma_f16 v51, 0xb93d3abb, v39, v37 op_sel:[0,0,1] op_sel_hi:[1,1,0] neg_lo:[0,0,1] neg_hi:[0,0,1]
	v_pk_mul_f16 v56, 0xba0c3482, v56
	v_pk_add_f16 v61, v6, v5
	v_pk_add_f16 v5, v5, v6 neg_lo:[0,1] neg_hi:[0,1]
	v_fma_f16 v6, v9, 0xb08e, -v20
	v_fmac_f16_e32 v20, 0xb08e, v9
	v_add_f16_e32 v23, v45, v23
	v_add_f16_e32 v21, v43, v21
	v_fma_f16 v43, v9, 0x3abb, -v42
	v_add_f16_e32 v35, v53, v35
	v_lshrrev_b32_e32 v53, 16, v60
	v_add_f16_e32 v36, v54, v36
	v_mul_f16_e32 v54, 0xba0c, v4
	v_pk_add_f16 v11, v51, v11
	v_add_f16_e32 v16, v16, v8
	v_pk_fma_f16 v8, 0xbbadb93d, v9, v56 op_sel:[0,0,1] op_sel_hi:[1,1,0] neg_lo:[0,0,1] neg_hi:[0,0,1]
	v_fma_f16 v50, v39, 0xbbad, -v47
	v_fmac_f16_e32 v47, 0xbbad, v39
	v_fma_f16 v48, v41, 0xbbad, -v48
	v_fma_f16 v52, v41, 0xb08e, -v52
	v_pk_add_f16 v1, v3, v1
	v_fma_f16 v3, v9, 0xbbad, -v2
	v_add_f16_e32 v31, v31, v0
	v_add_f16_e32 v24, v24, v0
	v_add_f16_sdwa v29, v29, v0 dst_sel:DWORD dst_unused:UNUSED_PAD src0_sel:DWORD src1_sel:WORD_1
	v_add_f16_sdwa v33, v33, v0 dst_sel:DWORD dst_unused:UNUSED_PAD src0_sel:DWORD src1_sel:WORD_1
	v_fmamk_f16 v51, v53, 0xb93d, v54
	v_fma_f16 v54, v53, 0xb93d, -v54
	v_add_f16_e32 v7, v7, v23
	v_add_f16_e32 v15, v20, v15
	v_mov_b32_e32 v20, 0xb482
	v_add_f16_e32 v18, v44, v18
	v_add_f16_e32 v35, v43, v35
	v_lshrrev_b32_e32 v43, 16, v61
	v_pk_add_f16 v11, v8, v11
	v_mul_f16_e32 v8, 0xba0c, v5
	v_mul_f16_e32 v57, 0x3abb, v41
	v_fma_f16 v41, v41, 0x3abb, -v55
	v_fmac_f16_e32 v2, 0xbbad, v9
	v_fma_f16 v45, v9, 0x36a6, -v14
	v_fmac_f16_e32 v14, 0x36a6, v9
	v_add_f16_e32 v31, v50, v31
	v_fmamk_f16 v50, v58, 0x3abb, v46
	v_fmac_f16_e32 v42, 0x3abb, v9
	v_fma_f16 v46, v58, 0x3abb, -v46
	v_add_f16_e32 v24, v47, v24
	v_add_f16_e32 v29, v48, v29
	v_mul_f16_sdwa v48, v4, v25 dst_sel:DWORD dst_unused:UNUSED_PAD src0_sel:WORD_1 src1_sel:DWORD
	v_add_f16_e32 v33, v52, v33
	v_add_f16_sdwa v17, v17, v0 dst_sel:DWORD dst_unused:UNUSED_PAD src0_sel:DWORD src1_sel:WORD_1
	v_mul_f16_sdwa v13, v4, v13 dst_sel:DWORD dst_unused:UNUSED_PAD src0_sel:WORD_1 src1_sel:DWORD
	v_add_f16_e32 v6, v6, v22
	v_mul_f16_e32 v22, 0xb853, v4
	v_add_f16_e32 v3, v3, v26
	v_mul_f16_sdwa v26, v4, v20 dst_sel:DWORD dst_unused:UNUSED_PAD src0_sel:WORD_1 src1_sel:DWORD
	v_add_f16_e32 v7, v51, v7
	v_add_f16_e32 v18, v54, v18
	v_fmamk_f16 v51, v43, 0xb93d, v8
	v_mul_f16_sdwa v54, v5, v59 dst_sel:DWORD dst_unused:UNUSED_PAD src0_sel:WORD_1 src1_sel:DWORD
	v_fma_f16 v59, v43, 0xb93d, -v8
	v_pk_add_f16 v8, v10, v1
	v_pk_mul_f16 v1, 0xb93d3abb, v39
	v_fma_f16 v38, v58, 0x36a6, -v38
	v_mul_f16_e32 v47, 0xb93d, v58
	v_fma_f16 v58, v58, 0xb93d, -v34
	v_fma_f16 v52, v60, 0xb93d, -v48
	v_mul_f16_sdwa v49, v4, v49 dst_sel:DWORD dst_unused:UNUSED_PAD src0_sel:WORD_1 src1_sel:DWORD
	v_fmac_f16_e32 v48, 0xb93d, v60
	v_add_f16_e32 v17, v41, v17
	v_fma_f16 v23, v60, 0x3abb, -v13
	v_fmamk_f16 v44, v53, 0x3abb, v22
	v_fmac_f16_e32 v13, 0x3abb, v60
	v_add_f16_e32 v2, v2, v21
	v_mul_f16_e32 v21, 0xb482, v4
	v_add_f16_e32 v31, v45, v31
	v_fma_f16 v45, v60, 0xbbad, -v26
	v_add_f16_e32 v14, v14, v24
	v_mul_f16_e32 v24, 0x3b47, v4
	v_fmac_f16_e32 v26, 0xbbad, v60
	v_mul_f16_sdwa v20, v5, v20 dst_sel:DWORD dst_unused:UNUSED_PAD src0_sel:WORD_1 src1_sel:DWORD
	v_add_f16_e32 v32, v42, v32
	v_mov_b32_e32 v42, 0x3853
	v_add_f16_e32 v33, v46, v33
	v_mul_f16_e32 v46, 0xb482, v5
	v_pk_mul_f16 v39, 0xbbadb93d, v9
	v_pk_mul_f16 v4, 0x3b473beb, v4
	v_add_f16_sdwa v9, v37, v1 dst_sel:DWORD dst_unused:UNUSED_PAD src0_sel:DWORD src1_sel:WORD_1
	v_add_f16_sdwa v10, v62, v0 dst_sel:DWORD dst_unused:UNUSED_PAD src0_sel:WORD_1 src1_sel:WORD_1
	v_fma_f16 v41, v60, 0xb08e, -v49
	v_fmac_f16_e32 v49, 0xb08e, v60
	v_fmamk_f16 v63, v53, 0xbbad, v21
	v_fma_f16 v21, v53, 0xbbad, -v21
	v_add_f16_e32 v36, v50, v36
	v_fma_f16 v50, v61, 0xbbad, -v20
	v_mul_f16_sdwa v42, v5, v42 dst_sel:DWORD dst_unused:UNUSED_PAD src0_sel:WORD_1 src1_sel:DWORD
	v_add_f16_e32 v17, v58, v17
	v_fmamk_f16 v58, v43, 0xbbad, v46
	v_fmac_f16_e32 v20, 0xbbad, v61
	v_fma_f16 v46, v43, 0xbbad, -v46
	v_add_f16_e32 v15, v48, v15
	v_add_f16_e32 v16, v44, v16
	v_pk_mul_f16 v44, 0xb08e36a6, v60
	v_add_f16_e32 v13, v13, v14
	v_pk_fma_f16 v14, 0xb08e36a6, v60, v4 op_sel:[0,0,1] op_sel_hi:[1,1,0] neg_lo:[0,0,1] neg_hi:[0,0,1]
	v_add_f16_e32 v32, v26, v32
	v_add_f16_e32 v10, v9, v10
	v_add_f16_sdwa v26, v56, v39 dst_sel:DWORD dst_unused:UNUSED_PAD src0_sel:DWORD src1_sel:WORD_1
	v_add_f16_e32 v6, v52, v6
	v_fma_f16 v52, v61, 0x3abb, -v42
	v_fmac_f16_e32 v42, 0x3abb, v61
	v_add_f16_e32 v3, v41, v3
	v_add_f16_e32 v2, v49, v2
	;; [unrolled: 1-line block ×5, first 2 shown]
	v_pk_add_f16 v33, v14, v11
	v_add_f16_e32 v10, v26, v10
	v_add_f16_sdwa v11, v4, v44 dst_sel:DWORD dst_unused:UNUSED_PAD src0_sel:DWORD src1_sel:WORD_1
	v_add_f16_e32 v20, v20, v15
	v_add_f16_e32 v36, v46, v18
	v_pack_b32_f16 v15, v55, v62
	v_perm_b32 v18, v0, v57, 0x5040100
	v_pack_b32_f16 v1, v40, v1
	v_perm_b32 v0, v37, v0, 0x7060302
	v_add_f16_e32 v29, v38, v29
	v_mul_f16_e32 v38, 0x36a6, v53
	v_add_f16_e32 v26, v58, v7
	v_add_f16_e32 v7, v11, v10
	;; [unrolled: 1-line block ×4, first 2 shown]
	v_pk_add_f16 v2, v15, v18
	v_pk_add_f16 v0, v1, v0
	v_pack_b32_f16 v1, v34, v39
	v_bfi_b32 v3, 0xffff, v47, v56
	v_mul_f16_sdwa v25, v5, v25 dst_sel:DWORD dst_unused:UNUSED_PAD src0_sel:WORD_1 src1_sel:DWORD
	v_mul_f16_e32 v41, 0x3b47, v5
	v_add_f16_e32 v9, v50, v6
	v_pk_mul_f16 v6, 0x3abbb08e, v61
	v_pk_mul_f16 v50, 0xbbeb3853, v5
	v_pk_add_f16 v0, v0, v2
	v_pk_add_f16 v1, v1, v3
	v_pack_b32_f16 v2, v24, v44
	v_bfi_b32 v3, 0xffff, v38, v4
	v_mul_f16_e32 v4, 0xbbeb, v5
	v_mul_f16_e32 v5, 0xb08e, v43
	v_fma_f16 v22, v53, 0x3abb, -v22
	v_fma_f16 v53, v53, 0x36a6, -v24
	v_add_f16_sdwa v11, v50, v6 dst_sel:DWORD dst_unused:UNUSED_PAD src0_sel:DWORD src1_sel:WORD_1
	v_pk_add_f16 v0, v1, v0
	v_pk_add_f16 v1, v2, v3
	v_pack_b32_f16 v2, v4, v6
	v_bfi_b32 v3, 0xffff, v5, v50
	v_fma_f16 v48, v61, 0xb93d, -v25
	v_fmac_f16_e32 v25, 0xb93d, v61
	v_fma_f16 v49, v61, 0x36a6, -v54
	v_add_f16_e32 v23, v23, v31
	v_fmamk_f16 v31, v43, 0x36a6, v41
	v_fmac_f16_e32 v54, 0x36a6, v61
	v_fma_f16 v41, v43, 0x36a6, -v41
	v_add_f16_e32 v22, v22, v29
	v_add_f16_e32 v17, v53, v17
	;; [unrolled: 1-line block ×3, first 2 shown]
	v_pk_fma_f16 v7, 0x3abbb08e, v61, v50 op_sel:[0,0,1] op_sel_hi:[1,1,0] neg_lo:[0,0,1] neg_hi:[0,0,1]
	v_pk_add_f16 v0, v1, v0
	v_pk_add_f16 v1, v2, v3
	v_fma_f16 v2, v43, 0xb08e, -v4
	v_add_f16_e32 v11, v48, v23
	v_add_f16_e32 v37, v51, v16
	;; [unrolled: 1-line block ×8, first 2 shown]
	v_pk_add_f16 v16, v7, v33
	v_pk_add_f16 v49, v1, v0
	v_add_f16_e32 v48, v2, v17
	v_mul_lo_u16 v35, v27, 11
	s_barrier
	buffer_gl0_inv
	s_and_saveexec_b32 s0, vcc_lo
	s_cbranch_execz .LBB0_7
; %bb.6:
	v_and_b32_e32 v0, 0xffff, v35
	v_perm_b32 v1, v26, v9, 0x5040100
	v_perm_b32 v2, v37, v11, 0x5040100
	;; [unrolled: 1-line block ×4, first 2 shown]
	v_add_lshl_u32 v0, v19, v0, 2
	v_perm_b32 v5, v49, v16, 0x5040100
	v_alignbit_b32 v6, v48, v49, 16
	v_perm_b32 v7, v38, v13, 0x5040100
	v_perm_b32 v17, v47, v18, 0x5040100
	ds_write2_b32 v0, v8, v1 offset1:1
	v_perm_b32 v1, v36, v20, 0x5040100
	v_bfi_b32 v21, 0xffff, v14, v16
	ds_write2_b32 v0, v3, v2 offset0:2 offset1:3
	ds_write_b32 v0, v4 offset:16
	ds_write2_b32 v0, v5, v6 offset0:5 offset1:6
	ds_write2_b32 v0, v17, v7 offset0:7 offset1:8
	ds_write2_b32 v0, v21, v1 offset0:9 offset1:10
.LBB0_7:
	s_or_b32 exec_lo, exec_lo, s0
	s_clause 0x1
	s_load_dwordx2 s[2:3], s[4:5], 0x20
	s_load_dwordx2 s[4:5], s[4:5], 0x8
	v_cmp_gt_u16_e64 s0, 0x4d, v27
	v_lshrrev_b32_e32 v17, 16, v49
	v_add_lshl_u32 v31, v19, v27, 2
	s_waitcnt lgkmcnt(0)
	s_barrier
	buffer_gl0_inv
	s_and_saveexec_b32 s1, s0
	s_cbranch_execz .LBB0_9
; %bb.8:
	v_add_nc_u32_e32 v0, 0x400, v31
	v_add_nc_u32_e32 v1, 0x600, v31
	;; [unrolled: 1-line block ×3, first 2 shown]
	ds_read2_b32 v[8:9], v31 offset1:77
	ds_read2_b32 v[10:11], v31 offset0:154 offset1:231
	ds_read2_b32 v[15:16], v0 offset0:52 offset1:129
	;; [unrolled: 1-line block ×4, first 2 shown]
	s_waitcnt lgkmcnt(4)
	v_lshrrev_b32_e32 v26, 16, v9
	s_waitcnt lgkmcnt(3)
	v_lshrrev_b32_e32 v29, 16, v10
	v_lshrrev_b32_e32 v37, 16, v11
	s_waitcnt lgkmcnt(2)
	v_lshrrev_b32_e32 v40, 16, v15
	;; [unrolled: 3-line block ×4, first 2 shown]
	v_bfi_b32 v16, 0xffff, v16, v14
.LBB0_9:
	s_or_b32 exec_lo, exec_lo, s1
	v_and_b32_e32 v0, 0xff, v27
	v_lshrrev_b32_e32 v50, 16, v16
	v_lshrrev_b32_e32 v44, 16, v8
	v_mul_lo_u16 v0, 0x75, v0
	v_lshrrev_b16 v0, 8, v0
	v_sub_nc_u16 v1, v27, v0
	v_lshrrev_b16 v1, 1, v1
	v_and_b32_e32 v1, 0x7f, v1
	v_add_nc_u16 v0, v1, v0
	v_lshrrev_b16 v33, 3, v0
	v_mul_lo_u16 v0, v33, 11
	v_sub_nc_u16 v0, v27, v0
	v_and_b32_e32 v32, 0xff, v0
	v_mad_u64_u32 v[21:22], null, v32, 36, s[4:5]
	s_clause 0x2
	global_load_dwordx4 v[0:3], v[21:22], off
	global_load_dwordx4 v[4:7], v[21:22], off offset:16
	global_load_dword v34, v[21:22], off offset:32
	s_waitcnt vmcnt(0)
	s_barrier
	buffer_gl0_inv
	v_mul_f16_sdwa v39, v26, v0 dst_sel:DWORD dst_unused:UNUSED_PAD src0_sel:DWORD src1_sel:WORD_1
	v_mul_f16_sdwa v25, v9, v0 dst_sel:DWORD dst_unused:UNUSED_PAD src0_sel:DWORD src1_sel:WORD_1
	;; [unrolled: 1-line block ×18, first 2 shown]
	v_fma_f16 v9, v9, v0, -v39
	v_fmac_f16_e32 v25, v26, v0
	v_fma_f16 v41, v10, v1, -v41
	v_fmac_f16_e32 v46, v29, v1
	;; [unrolled: 2-line block ×7, first 2 shown]
	v_fmac_f16_e32 v22, v47, v6
	v_fma_f16 v11, v13, v7, -v56
	v_fma_f16 v13, v14, v34, -v57
	v_fmac_f16_e32 v21, v50, v34
	v_sub_f16_e32 v16, v41, v15
	v_sub_f16_e32 v37, v15, v41
	;; [unrolled: 1-line block ×3, first 2 shown]
	v_add_f16_e32 v18, v41, v11
	v_sub_f16_e32 v38, v10, v11
	v_sub_f16_e32 v40, v46, v45
	;; [unrolled: 1-line block ×3, first 2 shown]
	v_add_f16_e32 v58, v29, v26
	v_add_f16_e32 v61, v39, v13
	;; [unrolled: 1-line block ×5, first 2 shown]
	v_sub_f16_e32 v51, v42, v21
	v_sub_f16_e32 v50, v23, v22
	;; [unrolled: 1-line block ×8, first 2 shown]
	v_add_f16_e32 v62, v16, v17
	v_add_f16_e32 v16, v37, v38
	;; [unrolled: 1-line block ×3, first 2 shown]
	v_fma_f16 v53, -0.5, v18, v8
	v_fma_f16 v71, -0.5, v58, v9
	;; [unrolled: 1-line block ×5, first 2 shown]
	v_sub_f16_e32 v49, v45, v43
	v_sub_f16_e32 v14, v15, v10
	;; [unrolled: 1-line block ×8, first 2 shown]
	v_add_f16_e32 v76, v15, v10
	v_add_f16_e32 v77, v45, v43
	v_fma_f16 v55, -0.5, v55, v44
	v_add_f16_e32 v37, v63, v65
	v_add_f16_e32 v69, v67, v68
	v_fmamk_f16 v68, v51, 0xbb9c, v71
	v_fmamk_f16 v63, v50, 0xbb9c, v18
	v_fmac_f16_e32 v18, 0x3b9c, v50
	v_fmamk_f16 v66, v54, 0x3b9c, v72
	v_fmamk_f16 v67, v52, 0x3b9c, v38
	v_fmac_f16_e32 v38, 0xbb9c, v52
	v_sub_f16_e32 v48, v46, v24
	v_sub_f16_e32 v47, v41, v11
	v_add_f16_e32 v17, v56, v57
	v_add_f16_e32 v70, v59, v60
	;; [unrolled: 1-line block ×3, first 2 shown]
	v_fma_f16 v60, -0.5, v76, v8
	v_fma_f16 v73, -0.5, v77, v44
	v_fmamk_f16 v56, v49, 0xbb9c, v53
	v_fmac_f16_e32 v53, 0x3b9c, v49
	v_fmamk_f16 v57, v14, 0x3b9c, v55
	v_fmac_f16_e32 v55, 0xbb9c, v14
	v_fmac_f16_e32 v68, 0xb8b4, v50
	;; [unrolled: 1-line block ×7, first 2 shown]
	v_fmamk_f16 v58, v48, 0xbb9c, v60
	v_fmamk_f16 v59, v47, 0x3b9c, v73
	v_fmac_f16_e32 v56, 0x38b4, v48
	v_fmac_f16_e32 v53, 0xb8b4, v48
	;; [unrolled: 1-line block ×16, first 2 shown]
	v_mul_f16_e32 v61, 0x3b9c, v67
	v_mul_f16_e32 v65, 0xbb9c, v63
	v_mul_f16_e32 v16, 0x34f2, v18
	v_mul_f16_e32 v17, 0x3a79, v68
	v_mul_f16_e32 v37, 0x34f2, v38
	v_mul_f16_e32 v40, 0x3a79, v66
	v_fmac_f16_e32 v58, 0x34f2, v62
	v_fmac_f16_e32 v59, 0x34f2, v64
	;; [unrolled: 1-line block ×3, first 2 shown]
	v_fma_f16 v63, v38, 0x3b9c, -v16
	v_fma_f16 v66, v66, 0x38b4, -v17
	v_fmac_f16_e32 v65, 0x34f2, v67
	v_fma_f16 v67, v18, 0xbb9c, -v37
	v_fma_f16 v68, v68, 0xb8b4, -v40
	v_sub_f16_e32 v17, v53, v63
	v_sub_f16_e32 v18, v58, v66
	;; [unrolled: 1-line block ×6, first 2 shown]
	s_and_saveexec_b32 s1, s0
	s_cbranch_execz .LBB0_11
; %bb.10:
	v_mul_f16_e32 v51, 0x3b9c, v51
	v_mul_f16_e32 v54, 0x3b9c, v54
	;; [unrolled: 1-line block ×5, first 2 shown]
	v_add_f16_e32 v51, v71, v51
	v_sub_f16_e32 v54, v72, v54
	v_add_f16_e32 v25, v25, v42
	v_mul_f16_e32 v48, 0x3b9c, v48
	v_mul_f16_e32 v70, 0x34f2, v70
	v_add_f16_e32 v50, v50, v51
	v_mul_f16_e32 v14, 0x38b4, v14
	v_mul_f16_e32 v51, 0x34f2, v69
	v_sub_f16_e32 v47, v73, v47
	v_sub_f16_e32 v52, v54, v52
	v_add_f16_e32 v44, v44, v46
	v_add_f16_e32 v8, v8, v41
	;; [unrolled: 1-line block ×4, first 2 shown]
	v_mul_f16_e32 v49, 0x38b4, v49
	v_add_f16_e32 v50, v70, v50
	v_sub_f16_e32 v14, v47, v14
	v_add_f16_e32 v47, v51, v52
	v_add_f16_e32 v44, v44, v45
	;; [unrolled: 1-line block ×6, first 2 shown]
	v_mul_f16_e32 v46, 0x34f2, v64
	v_mul_f16_e32 v51, 0x38b4, v50
	;; [unrolled: 1-line block ×3, first 2 shown]
	v_add_f16_e32 v43, v44, v43
	v_add_f16_e32 v22, v49, v25
	v_mul_f16_e32 v23, 0x38b4, v47
	v_add_f16_e32 v8, v8, v10
	v_add_f16_e32 v9, v9, v26
	;; [unrolled: 1-line block ×3, first 2 shown]
	v_mov_b32_e32 v21, 0x6e
	v_add_f16_e32 v14, v46, v14
	v_fma_f16 v42, v47, 0x3a79, -v51
	v_add_f16_e32 v24, v43, v24
	v_add_f16_e32 v15, v45, v22
	v_fmac_f16_e32 v23, 0x3a79, v50
	v_add_f16_e32 v8, v8, v11
	v_add_f16_e32 v9, v9, v13
	v_mul_u32_u24_sdwa v21, v33, v21 dst_sel:DWORD dst_unused:UNUSED_PAD src0_sel:WORD_0 src1_sel:DWORD
	v_sub_f16_e32 v11, v14, v42
	v_sub_f16_e32 v13, v24, v10
	v_add_f16_e32 v14, v14, v42
	v_sub_f16_e32 v25, v8, v9
	v_add_f16_e32 v10, v24, v10
	v_add_nc_u32_e32 v21, v21, v32
	v_add_f16_e32 v8, v8, v9
	v_add_f16_e32 v9, v15, v23
	v_sub_f16_e32 v22, v15, v23
	v_add_f16_e32 v29, v55, v67
	v_add_f16_e32 v39, v57, v65
	;; [unrolled: 1-line block ×6, first 2 shown]
	v_add_lshl_u32 v19, v19, v21, 2
	v_pack_b32_f16 v8, v8, v10
	v_pack_b32_f16 v9, v9, v14
	;; [unrolled: 1-line block ×7, first 2 shown]
	v_perm_b32 v21, v37, v16, 0x5040100
	v_perm_b32 v22, v38, v17, 0x5040100
	;; [unrolled: 1-line block ×3, first 2 shown]
	ds_write2_b32 v19, v8, v9 offset1:11
	ds_write2_b32 v19, v10, v14 offset0:22 offset1:33
	ds_write2_b32 v19, v15, v13 offset0:44 offset1:55
	ds_write2_b32 v19, v11, v21 offset0:66 offset1:77
	ds_write2_b32 v19, v22, v23 offset0:88 offset1:99
.LBB0_11:
	s_or_b32 exec_lo, exec_lo, s1
	v_mad_u64_u32 v[13:14], null, v27, 24, s[4:5]
	s_load_dwordx4 s[4:7], s[2:3], 0x0
	s_waitcnt lgkmcnt(0)
	s_barrier
	buffer_gl0_inv
	v_add_nc_u32_e32 v15, 0x200, v31
	v_add_nc_u32_e32 v19, 0x600, v31
	s_clause 0x1
	global_load_dwordx4 v[8:11], v[13:14], off offset:396
	global_load_dwordx2 v[13:14], v[13:14], off offset:412
	ds_read2_b32 v[22:23], v31 offset1:110
	ds_read_b32 v21, v31 offset:2640
	ds_read2_b32 v[24:25], v15 offset0:92 offset1:202
	ds_read2_b32 v[41:42], v19 offset0:56 offset1:166
	v_lshl_add_u32 v29, v27, 2, v30
	v_add_nc_u32_e32 v45, 0x200, v29
	v_add_nc_u32_e32 v46, 0x600, v29
	s_waitcnt lgkmcnt(3)
	v_lshrrev_b32_e32 v15, 16, v23
	s_waitcnt lgkmcnt(2)
	v_lshrrev_b32_e32 v19, 16, v21
	;; [unrolled: 2-line block ×4, first 2 shown]
	v_lshrrev_b32_e32 v39, 16, v25
	v_lshrrev_b32_e32 v43, 16, v41
	s_waitcnt vmcnt(1)
	v_mul_f16_sdwa v47, v15, v8 dst_sel:DWORD dst_unused:UNUSED_PAD src0_sel:DWORD src1_sel:WORD_1
	v_mul_f16_sdwa v48, v23, v8 dst_sel:DWORD dst_unused:UNUSED_PAD src0_sel:DWORD src1_sel:WORD_1
	;; [unrolled: 1-line block ×4, first 2 shown]
	s_waitcnt vmcnt(0)
	v_mul_f16_sdwa v55, v44, v13 dst_sel:DWORD dst_unused:UNUSED_PAD src0_sel:DWORD src1_sel:WORD_1
	v_mul_f16_sdwa v56, v42, v13 dst_sel:DWORD dst_unused:UNUSED_PAD src0_sel:DWORD src1_sel:WORD_1
	;; [unrolled: 1-line block ×8, first 2 shown]
	v_fma_f16 v23, v23, v8, -v47
	v_fmac_f16_e32 v48, v15, v8
	v_fma_f16 v15, v24, v9, -v49
	v_fmac_f16_e32 v50, v26, v9
	;; [unrolled: 2-line block ×6, first 2 shown]
	v_add_f16_e32 v26, v23, v21
	v_add_f16_e32 v39, v48, v58
	;; [unrolled: 1-line block ×4, first 2 shown]
	v_sub_f16_e32 v21, v23, v21
	v_sub_f16_e32 v23, v48, v58
	;; [unrolled: 1-line block ×4, first 2 shown]
	v_add_f16_e32 v43, v24, v25
	v_add_f16_e32 v44, v52, v54
	v_sub_f16_e32 v24, v25, v24
	v_sub_f16_e32 v25, v54, v52
	v_add_f16_e32 v47, v41, v26
	v_add_f16_e32 v48, v42, v39
	v_sub_f16_e32 v49, v41, v26
	v_sub_f16_e32 v50, v42, v39
	;; [unrolled: 1-line block ×6, first 2 shown]
	v_add_f16_e32 v51, v24, v15
	v_add_f16_e32 v52, v25, v19
	v_sub_f16_e32 v53, v24, v15
	v_sub_f16_e32 v54, v25, v19
	;; [unrolled: 1-line block ×4, first 2 shown]
	v_add_f16_e32 v43, v43, v47
	v_add_f16_e32 v44, v44, v48
	v_sub_f16_e32 v24, v21, v24
	v_sub_f16_e32 v25, v23, v25
	v_add_f16_e32 v47, v51, v21
	v_add_f16_e32 v23, v52, v23
	v_mul_f16_e32 v26, 0x3a52, v26
	v_mul_f16_e32 v48, 0x3a52, v39
	;; [unrolled: 1-line block ×8, first 2 shown]
	v_add_f16_e32 v21, v22, v43
	v_add_f16_sdwa v39, v22, v44 dst_sel:DWORD dst_unused:UNUSED_PAD src0_sel:WORD_1 src1_sel:DWORD
	v_fmamk_f16 v22, v41, 0x2b26, v26
	v_fmamk_f16 v41, v42, 0x2b26, v48
	v_fma_f16 v42, v49, 0x39e0, -v51
	v_fma_f16 v51, v50, 0x39e0, -v52
	;; [unrolled: 1-line block ×3, first 2 shown]
	v_fmamk_f16 v50, v24, 0x3574, v53
	v_fmamk_f16 v52, v25, 0x3574, v54
	v_fma_f16 v15, v15, 0x3b00, -v53
	v_fma_f16 v53, v19, 0x3b00, -v54
	;; [unrolled: 1-line block ×4, first 2 shown]
	v_fmamk_f16 v19, v43, 0xbcab, v21
	v_fmamk_f16 v25, v44, 0xbcab, v39
	v_fma_f16 v26, v49, 0xb9e0, -v26
	v_fmac_f16_e32 v50, 0x370e, v47
	v_fmac_f16_e32 v52, 0x370e, v23
	v_add_f16_e32 v55, v22, v19
	v_add_f16_e32 v56, v41, v25
	v_fmac_f16_e32 v15, 0x370e, v47
	v_fmac_f16_e32 v53, 0x370e, v23
	;; [unrolled: 1-line block ×4, first 2 shown]
	v_add_f16_e32 v23, v42, v19
	v_add_f16_e32 v41, v26, v19
	;; [unrolled: 1-line block ×5, first 2 shown]
	v_sub_f16_e32 v19, v56, v50
	v_add_f16_e32 v25, v24, v41
	v_sub_f16_e32 v49, v42, v54
	v_sub_f16_e32 v26, v23, v53
	v_add_f16_e32 v44, v15, v43
	v_add_f16_e32 v23, v53, v23
	v_sub_f16_e32 v43, v43, v15
	v_sub_f16_e32 v24, v41, v24
	v_add_f16_e32 v41, v54, v42
	v_sub_f16_e32 v15, v55, v52
	v_add_f16_e32 v42, v50, v56
	v_pack_b32_f16 v47, v21, v39
	v_pack_b32_f16 v48, v22, v19
	;; [unrolled: 1-line block ×7, first 2 shown]
	ds_write2_b32 v29, v47, v48 offset1:110
	ds_write2_b32 v45, v50, v51 offset0:92 offset1:202
	ds_write2_b32 v46, v52, v53 offset0:56 offset1:166
	ds_write_b32 v29, v54 offset:2640
	s_waitcnt lgkmcnt(0)
	s_barrier
	buffer_gl0_inv
	s_and_saveexec_b32 s2, vcc_lo
	s_cbranch_execz .LBB0_13
; %bb.12:
	v_add_co_u32 v50, s1, s10, v28
	v_add_co_ci_u32_e64 v51, null, s11, 0, s1
	v_add_nc_u32_e32 v67, 0x400, v29
	v_add_co_u32 v45, s1, 0x800, v50
	v_add_co_ci_u32_e64 v46, s1, 0, v51, s1
	v_add_co_u32 v47, s1, 0xc08, v50
	v_add_co_ci_u32_e64 v48, s1, 0, v51, s1
	v_add_nc_u32_e32 v68, 0x800, v29
	s_clause 0x3
	global_load_dword v56, v[45:46], off offset:1032
	global_load_dword v57, v[47:48], off offset:280
	;; [unrolled: 1-line block ×4, first 2 shown]
	v_add_co_u32 v45, s1, 0x1000, v50
	s_clause 0x1
	global_load_dword v60, v[47:48], off offset:1120
	global_load_dword v61, v[47:48], off offset:1400
	v_add_co_ci_u32_e64 v46, s1, 0, v51, s1
	s_clause 0x4
	global_load_dword v62, v[47:48], off offset:1680
	global_load_dword v63, v[47:48], off offset:1960
	;; [unrolled: 1-line block ×5, first 2 shown]
	ds_read2_b32 v[45:46], v29 offset1:70
	ds_read2_b32 v[47:48], v29 offset0:140 offset1:210
	ds_read_b32 v69, v29 offset:2800
	ds_read2_b32 v[50:51], v67 offset0:24 offset1:94
	ds_read2_b32 v[52:53], v67 offset0:164 offset1:234
	;; [unrolled: 1-line block ×3, first 2 shown]
	s_waitcnt lgkmcnt(3)
	v_lshrrev_b32_e32 v74, 16, v69
	v_lshrrev_b32_e32 v70, 16, v45
	;; [unrolled: 1-line block ×5, first 2 shown]
	s_waitcnt lgkmcnt(2)
	v_lshrrev_b32_e32 v75, 16, v50
	v_lshrrev_b32_e32 v76, 16, v51
	s_waitcnt lgkmcnt(1)
	v_lshrrev_b32_e32 v77, 16, v52
	v_lshrrev_b32_e32 v78, 16, v53
	;; [unrolled: 3-line block ×3, first 2 shown]
	s_waitcnt vmcnt(10)
	v_mul_f16_sdwa v81, v70, v56 dst_sel:DWORD dst_unused:UNUSED_PAD src0_sel:DWORD src1_sel:WORD_1
	v_mul_f16_sdwa v82, v45, v56 dst_sel:DWORD dst_unused:UNUSED_PAD src0_sel:DWORD src1_sel:WORD_1
	s_waitcnt vmcnt(9)
	v_mul_f16_sdwa v83, v71, v57 dst_sel:DWORD dst_unused:UNUSED_PAD src0_sel:DWORD src1_sel:WORD_1
	v_mul_f16_sdwa v84, v46, v57 dst_sel:DWORD dst_unused:UNUSED_PAD src0_sel:DWORD src1_sel:WORD_1
	;; [unrolled: 3-line block ×11, first 2 shown]
	v_fma_f16 v45, v45, v56, -v81
	v_fmac_f16_e32 v82, v70, v56
	v_fma_f16 v46, v46, v57, -v83
	v_fmac_f16_e32 v84, v71, v57
	;; [unrolled: 2-line block ×11, first 2 shown]
	v_pack_b32_f16 v45, v45, v82
	v_pack_b32_f16 v46, v46, v84
	;; [unrolled: 1-line block ×11, first 2 shown]
	ds_write2_b32 v29, v45, v46 offset1:70
	ds_write2_b32 v29, v47, v48 offset0:140 offset1:210
	ds_write2_b32 v67, v50, v51 offset0:24 offset1:94
	;; [unrolled: 1-line block ×4, first 2 shown]
	ds_write_b32 v29, v56 offset:2800
.LBB0_13:
	s_or_b32 exec_lo, exec_lo, s2
	s_waitcnt lgkmcnt(0)
	s_barrier
	buffer_gl0_inv
	s_and_saveexec_b32 s1, vcc_lo
	s_cbranch_execz .LBB0_15
; %bb.14:
	v_add_nc_u32_e32 v15, 0x400, v29
	v_add_nc_u32_e32 v17, 0x800, v29
	ds_read2_b32 v[21:22], v29 offset1:70
	ds_read2_b32 v[25:26], v29 offset0:140 offset1:210
	ds_read2_b32 v[23:24], v15 offset0:24 offset1:94
	;; [unrolled: 1-line block ×4, first 2 shown]
	ds_read_b32 v20, v29 offset:2800
	s_waitcnt lgkmcnt(5)
	v_lshrrev_b32_e32 v39, 16, v21
	v_lshrrev_b32_e32 v19, 16, v22
	s_waitcnt lgkmcnt(4)
	v_lshrrev_b32_e32 v49, 16, v25
	v_lshrrev_b32_e32 v44, 16, v26
	;; [unrolled: 3-line block ×5, first 2 shown]
	s_waitcnt lgkmcnt(0)
	v_lshrrev_b32_e32 v36, 16, v20
.LBB0_15:
	s_or_b32 exec_lo, exec_lo, s1
	v_add_f16_e32 v45, v22, v21
	v_add_f16_e32 v47, v19, v39
	v_sub_f16_e32 v50, v19, v36
	v_add_f16_e32 v48, v36, v19
	v_add_f16_e32 v46, v20, v22
	;; [unrolled: 1-line block ×4, first 2 shown]
	v_sub_f16_e32 v22, v22, v20
	v_mul_f16_e32 v54, 0xbbeb, v50
	v_mul_f16_e32 v55, 0xb08e, v48
	v_add_f16_e32 v19, v26, v51
	v_add_f16_e32 v51, v44, v47
	v_mul_f16_e32 v56, 0xba0c, v50
	v_fmamk_f16 v61, v46, 0xb08e, v54
	v_fmamk_f16 v62, v22, 0x3beb, v55
	v_add_f16_e32 v19, v23, v19
	v_add_f16_e32 v51, v43, v51
	v_mul_f16_e32 v45, 0xb853, v50
	v_mul_f16_e32 v47, 0xb853, v22
	;; [unrolled: 1-line block ×3, first 2 shown]
	v_add_f16_e32 v19, v24, v19
	v_add_f16_e32 v51, v41, v51
	v_mul_f16_e32 v50, 0xb482, v50
	v_sub_f16_e32 v68, v49, v40
	v_sub_f16_e32 v69, v25, v18
	v_add_f16_e32 v19, v15, v19
	v_add_f16_e32 v51, v42, v51
	v_mul_f16_e32 v53, 0x36a6, v48
	v_fmamk_f16 v57, v46, 0x3abb, v45
	v_fma_f16 v58, v48, 0x3abb, -v47
	v_add_f16_e32 v19, v16, v19
	v_add_f16_e32 v51, v37, v51
	v_mul_f16_e32 v64, 0xbbad, v48
	v_fmamk_f16 v65, v46, 0xbbad, v50
	v_fma_f16 v70, v46, 0xbbad, -v50
	v_add_f16_e32 v19, v17, v19
	v_add_f16_e32 v51, v38, v51
	;; [unrolled: 1-line block ×3, first 2 shown]
	v_fmamk_f16 v59, v46, 0x36a6, v52
	v_fmamk_f16 v60, v22, 0x3b47, v53
	v_add_f16_e32 v19, v18, v19
	v_add_f16_e32 v51, v40, v51
	v_fma_f16 v52, v46, 0x36a6, -v52
	v_fmac_f16_e32 v53, 0xbb47, v22
	v_add_f16_e32 v57, v21, v57
	v_add_f16_e32 v19, v20, v19
	;; [unrolled: 1-line block ×4, first 2 shown]
	v_fmamk_f16 v51, v46, 0xb93d, v56
	v_add_f16_e32 v61, v39, v62
	v_mul_f16_e32 v62, 0xb93d, v48
	v_add_f16_e32 v58, v39, v58
	v_fmac_f16_e32 v55, 0xbbeb, v22
	v_add_f16_e32 v63, v21, v51
	v_fmamk_f16 v66, v22, 0x3482, v64
	v_fmamk_f16 v51, v22, 0x3a0c, v62
	v_fmac_f16_e32 v62, 0xba0c, v22
	v_add_f16_e32 v18, v21, v70
	v_mul_f16_e32 v25, 0xba0c, v68
	v_fmac_f16_e32 v64, 0xb482, v22
	v_add_f16_e32 v67, v39, v51
	v_add_f16_e32 v51, v40, v49
	v_mul_f16_e32 v40, 0xbb47, v68
	v_mul_f16_e32 v49, 0xbb47, v69
	v_add_f16_e32 v60, v39, v60
	v_add_f16_e32 v52, v21, v52
	v_mul_f16_e32 v71, 0xb93d, v51
	v_fmamk_f16 v22, v50, 0x36a6, v40
	v_fma_f16 v70, v51, 0x36a6, -v49
	v_add_f16_e32 v53, v39, v53
	v_fmamk_f16 v72, v50, 0xb93d, v25
	v_fma_f16 v25, v50, 0xb93d, -v25
	v_add_f16_e32 v22, v22, v57
	v_add_f16_e32 v57, v70, v58
	v_fmamk_f16 v58, v69, 0x3a0c, v71
	v_mul_f16_e32 v70, 0x3482, v68
	v_fmac_f16_e32 v71, 0xba0c, v69
	v_fma_f16 v54, v46, 0xb08e, -v54
	v_add_f16_e32 v59, v21, v59
	v_add_f16_e32 v58, v58, v60
	v_mul_f16_e32 v60, 0xbbad, v51
	v_add_f16_e32 v25, v25, v52
	v_fmamk_f16 v52, v50, 0xbbad, v70
	v_add_f16_e32 v71, v71, v53
	v_mul_f16_e32 v53, 0x3beb, v68
	v_add_f16_e32 v54, v21, v54
	v_add_f16_e32 v55, v39, v55
	;; [unrolled: 1-line block ×3, first 2 shown]
	v_fmamk_f16 v72, v69, 0xb482, v60
	v_fma_f16 v70, v50, 0xbbad, -v70
	v_add_f16_e32 v20, v52, v20
	v_fmac_f16_e32 v60, 0x3482, v69
	v_fmamk_f16 v52, v50, 0xb08e, v53
	v_fma_f16 v56, v46, 0xb93d, -v56
	v_add_f16_e32 v70, v70, v54
	v_mul_f16_e32 v54, 0xb08e, v51
	v_add_f16_e32 v55, v60, v55
	v_add_f16_e32 v60, v52, v63
	v_mul_f16_e32 v52, 0x3853, v68
	v_add_f16_e32 v65, v21, v65
	v_add_f16_e32 v61, v72, v61
	v_mul_f16_e32 v63, 0x3abb, v51
	v_fmamk_f16 v68, v69, 0xbbeb, v54
	v_fmamk_f16 v72, v50, 0x3abb, v52
	v_add_f16_e32 v56, v21, v56
	v_add_f16_e32 v62, v39, v62
	;; [unrolled: 1-line block ×3, first 2 shown]
	v_fma_f16 v53, v50, 0xb08e, -v53
	v_fmac_f16_e32 v54, 0x3beb, v69
	v_fmamk_f16 v73, v69, 0xb853, v63
	v_add_f16_e32 v67, v68, v67
	v_add_f16_e32 v65, v72, v65
	v_sub_f16_e32 v68, v44, v38
	v_sub_f16_e32 v72, v26, v17
	v_add_f16_e32 v56, v53, v56
	v_add_f16_e32 v62, v54, v62
	;; [unrolled: 1-line block ×3, first 2 shown]
	v_fma_f16 v73, v50, 0x3abb, -v52
	v_add_f16_e32 v54, v17, v26
	v_add_f16_e32 v53, v38, v44
	v_mul_f16_e32 v44, 0xbbeb, v68
	v_mul_f16_e32 v52, 0xbbeb, v72
	v_fmac_f16_e32 v63, 0x3853, v69
	v_add_f16_e32 v17, v73, v18
	v_mul_f16_e32 v69, 0xbbad, v53
	v_fmamk_f16 v26, v54, 0xb08e, v44
	v_fma_f16 v38, v53, 0xb08e, -v52
	v_mul_f16_e32 v18, 0x3482, v68
	v_add_f16_e32 v64, v39, v64
	v_sub_f16_e32 v74, v23, v16
	v_add_f16_e32 v22, v26, v22
	v_add_f16_e32 v26, v38, v57
	v_fmamk_f16 v38, v72, 0xb482, v69
	v_fmac_f16_e32 v69, 0x3482, v72
	v_fmamk_f16 v73, v54, 0xbbad, v18
	v_fma_f16 v18, v54, 0xbbad, -v18
	v_mul_f16_e32 v57, 0x3b47, v68
	v_add_f16_e32 v38, v38, v58
	v_mul_f16_e32 v58, 0x36a6, v53
	v_add_f16_e32 v69, v69, v71
	v_add_f16_e32 v63, v63, v64
	;; [unrolled: 1-line block ×4, first 2 shown]
	v_fmamk_f16 v71, v72, 0xbb47, v58
	v_fmac_f16_e32 v58, 0x3b47, v72
	v_fmamk_f16 v25, v54, 0x36a6, v57
	v_mul_f16_e32 v59, 0xb853, v68
	v_fma_f16 v57, v54, 0x36a6, -v57
	v_add_f16_e32 v71, v71, v61
	v_add_f16_e32 v55, v58, v55
	v_mul_f16_e32 v58, 0xba0c, v68
	v_mul_f16_e32 v68, 0xb93d, v53
	v_add_f16_e32 v20, v25, v20
	v_fmamk_f16 v25, v54, 0x3abb, v59
	v_add_f16_e32 v70, v57, v70
	v_mul_f16_e32 v57, 0x3abb, v53
	v_fmamk_f16 v73, v72, 0x3a0c, v68
	v_fma_f16 v59, v54, 0x3abb, -v59
	v_add_f16_e32 v25, v25, v60
	v_fmamk_f16 v61, v54, 0xb93d, v58
	v_fmamk_f16 v60, v72, 0x3853, v57
	v_fmac_f16_e32 v57, 0xb853, v72
	v_add_f16_e32 v66, v73, v66
	v_sub_f16_e32 v73, v43, v37
	v_add_f16_e32 v56, v59, v56
	v_add_f16_e32 v67, v60, v67
	;; [unrolled: 1-line block ×4, first 2 shown]
	v_fma_f16 v58, v54, 0xb93d, -v58
	v_add_f16_e32 v61, v16, v23
	v_add_f16_e32 v60, v37, v43
	v_mul_f16_e32 v57, 0xba0c, v73
	v_mul_f16_e32 v59, 0xba0c, v74
	v_add_f16_e32 v16, v58, v17
	v_mul_f16_e32 v17, 0x3beb, v73
	v_mul_f16_e32 v43, 0xb08e, v60
	v_fmamk_f16 v23, v61, 0xb93d, v57
	v_fma_f16 v37, v60, 0xb93d, -v59
	v_fmac_f16_e32 v68, 0xba0c, v72
	v_fmamk_f16 v58, v61, 0xb08e, v17
	v_fma_f16 v17, v61, 0xb08e, -v17
	v_add_f16_e32 v22, v23, v22
	v_add_f16_e32 v23, v37, v26
	v_fmamk_f16 v26, v74, 0xbbeb, v43
	v_add_f16_e32 v37, v58, v64
	v_mul_f16_e32 v58, 0xb853, v73
	v_fmac_f16_e32 v43, 0x3beb, v74
	v_add_f16_e32 v68, v68, v63
	v_add_f16_e32 v38, v26, v38
	v_mul_f16_e32 v26, 0x3abb, v60
	v_add_f16_e32 v17, v17, v18
	v_fmamk_f16 v18, v61, 0x3abb, v58
	v_add_f16_e32 v69, v43, v69
	v_mul_f16_e32 v43, 0xb482, v73
	v_fmamk_f16 v63, v74, 0x3853, v26
	v_fmac_f16_e32 v26, 0xb853, v74
	v_fma_f16 v58, v61, 0x3abb, -v58
	v_add_f16_e32 v72, v18, v20
	v_fmamk_f16 v18, v61, 0xbbad, v43
	v_mul_f16_e32 v20, 0xbbad, v60
	v_add_f16_e32 v55, v26, v55
	v_mul_f16_e32 v26, 0x36a6, v60
	v_add_f16_e32 v58, v58, v70
	v_add_f16_e32 v25, v18, v25
	v_mul_f16_e32 v18, 0x3b47, v73
	v_add_f16_e32 v71, v63, v71
	v_fmamk_f16 v70, v74, 0xbb47, v26
	v_fmamk_f16 v63, v74, 0x3482, v20
	v_fmac_f16_e32 v20, 0xb482, v74
	v_fmamk_f16 v64, v61, 0x36a6, v18
	v_sub_f16_e32 v76, v24, v15
	v_add_f16_e32 v66, v70, v66
	v_sub_f16_e32 v70, v41, v42
	v_add_f16_e32 v73, v20, v62
	v_add_f16_e32 v75, v64, v65
	v_add_f16_e32 v64, v15, v24
	v_add_f16_e32 v67, v63, v67
	v_mul_f16_e32 v62, 0xb482, v70
	v_fma_f16 v18, v61, 0x36a6, -v18
	v_add_f16_e32 v65, v42, v41
	v_mul_f16_e32 v63, 0xb482, v76
	v_fmac_f16_e32 v26, 0x3b47, v74
	v_fmamk_f16 v15, v64, 0xbbad, v62
	v_mul_f16_e32 v24, 0x3853, v70
	v_add_f16_e32 v74, v18, v16
	v_fma_f16 v16, v65, 0xbbad, -v63
	v_mul_f16_e32 v41, 0x3abb, v65
	v_add_f16_e32 v20, v15, v22
	v_mul_f16_e32 v22, 0xba0c, v70
	v_fma_f16 v43, v61, 0xbbad, -v43
	v_add_f16_e32 v68, v26, v68
	v_fmamk_f16 v18, v64, 0x3abb, v24
	v_add_f16_e32 v26, v16, v23
	v_fmamk_f16 v16, v76, 0xb853, v41
	v_fmamk_f16 v23, v64, 0xb93d, v22
	v_add_f16_e32 v56, v43, v56
	v_add_f16_e32 v15, v18, v37
	v_fma_f16 v18, v64, 0x3abb, -v24
	v_fmac_f16_e32 v41, 0x3853, v76
	v_mul_f16_e32 v24, 0xb93d, v65
	v_add_f16_e32 v43, v16, v38
	v_add_f16_e32 v16, v23, v72
	v_mul_f16_e32 v23, 0x3b47, v70
	v_add_f16_e32 v18, v18, v17
	v_add_f16_e32 v37, v41, v69
	v_fmamk_f16 v17, v76, 0x3a0c, v24
	v_fma_f16 v22, v64, 0xb93d, -v22
	v_fmac_f16_e32 v24, 0xba0c, v76
	v_mul_f16_e32 v41, 0x36a6, v65
	v_fmamk_f16 v42, v64, 0x36a6, v23
	v_add_f16_e32 v38, v17, v71
	v_add_f16_e32 v17, v22, v58
	;; [unrolled: 1-line block ×3, first 2 shown]
	v_fmamk_f16 v24, v76, 0xbb47, v41
	v_fma_f16 v23, v64, 0x36a6, -v23
	v_add_f16_e32 v22, v42, v25
	v_mul_f16_e32 v42, 0xbbeb, v70
	v_mul_f16_e32 v69, 0xb08e, v65
	v_add_f16_e32 v58, v24, v67
	v_add_f16_e32 v25, v23, v56
	v_fmac_f16_e32 v41, 0x3b47, v76
	v_fmamk_f16 v23, v64, 0xb08e, v42
	v_fmamk_f16 v24, v76, 0x3beb, v69
	v_fma_f16 v56, v64, 0xb08e, -v42
	v_fmac_f16_e32 v69, 0xbbeb, v76
	v_add_f16_e32 v41, v41, v73
	v_add_f16_e32 v23, v23, v75
	;; [unrolled: 1-line block ×5, first 2 shown]
	s_barrier
	buffer_gl0_inv
	s_and_saveexec_b32 s1, vcc_lo
	s_cbranch_execz .LBB0_17
; %bb.16:
	v_mul_f16_e32 v48, 0x3abb, v48
	v_mul_f16_e32 v46, 0x3abb, v46
	;; [unrolled: 1-line block ×5, first 2 shown]
	v_add_f16_e32 v47, v47, v48
	v_sub_f16_e32 v45, v46, v45
	v_mul_f16_e32 v48, 0xb08e, v53
	v_add_f16_e32 v49, v49, v51
	v_sub_f16_e32 v40, v50, v40
	v_add_f16_e32 v39, v39, v47
	v_add_f16_e32 v21, v21, v45
	v_mul_f16_e32 v46, 0xb93d, v61
	v_mul_f16_e32 v45, 0xb93d, v60
	v_add_f16_e32 v47, v52, v48
	v_add_f16_e32 v39, v49, v39
	v_sub_f16_e32 v44, v54, v44
	v_add_f16_e32 v21, v40, v21
	v_mul_f16_e32 v40, 0xbbad, v65
	v_add_f16_e32 v45, v59, v45
	v_add_f16_e32 v39, v47, v39
	v_sub_f16_e32 v46, v46, v57
	v_add_f16_e32 v21, v44, v21
	v_mul_f16_e32 v44, 0xbbad, v64
	v_and_b32_e32 v35, 0xffff, v35
	v_add_f16_e32 v39, v45, v39
	v_add_f16_e32 v40, v63, v40
	;; [unrolled: 1-line block ×3, first 2 shown]
	v_sub_f16_e32 v44, v44, v62
	v_lshl_add_u32 v35, v35, 2, v30
	v_perm_b32 v45, v26, v20, 0x5040100
	v_perm_b32 v46, v36, v19, 0x5040100
	v_add_f16_e32 v39, v40, v39
	v_add_f16_e32 v21, v44, v21
	v_perm_b32 v40, v38, v16, 0x5040100
	v_perm_b32 v44, v43, v15, 0x5040100
	ds_write2_b32 v35, v46, v45 offset1:1
	v_perm_b32 v45, v42, v23, 0x5040100
	v_perm_b32 v46, v58, v22, 0x5040100
	;; [unrolled: 1-line block ×6, first 2 shown]
	v_pack_b32_f16 v21, v21, v39
	ds_write2_b32 v35, v44, v40 offset0:2 offset1:3
	ds_write2_b32 v35, v46, v45 offset0:4 offset1:5
	;; [unrolled: 1-line block ×4, first 2 shown]
	ds_write_b32 v35, v21 offset:40
.LBB0_17:
	s_or_b32 exec_lo, exec_lo, s1
	s_waitcnt lgkmcnt(0)
	s_barrier
	buffer_gl0_inv
	s_and_saveexec_b32 s1, s0
	s_cbranch_execz .LBB0_19
; %bb.18:
	v_add_nc_u32_e32 v17, 0x400, v31
	v_add_nc_u32_e32 v18, 0x600, v31
	v_add_nc_u32_e32 v21, 0x800, v31
	ds_read2_b32 v[19:20], v31 offset1:77
	ds_read2_b32 v[15:16], v31 offset0:154 offset1:231
	ds_read2_b32 v[22:23], v17 offset0:52 offset1:129
	;; [unrolled: 1-line block ×4, first 2 shown]
	s_waitcnt lgkmcnt(4)
	v_lshrrev_b32_e32 v36, 16, v19
	v_lshrrev_b32_e32 v26, 16, v20
	s_waitcnt lgkmcnt(3)
	v_lshrrev_b32_e32 v43, 16, v15
	v_lshrrev_b32_e32 v38, 16, v16
	;; [unrolled: 3-line block ×5, first 2 shown]
.LBB0_19:
	s_or_b32 exec_lo, exec_lo, s1
	s_barrier
	buffer_gl0_inv
	s_and_saveexec_b32 s1, s0
	s_cbranch_execz .LBB0_21
; %bb.20:
	v_mul_f16_sdwa v40, v7, v55 dst_sel:DWORD dst_unused:UNUSED_PAD src0_sel:WORD_1 src1_sel:DWORD
	v_mul_f16_sdwa v39, v1, v43 dst_sel:DWORD dst_unused:UNUSED_PAD src0_sel:WORD_1 src1_sel:DWORD
	;; [unrolled: 1-line block ×5, first 2 shown]
	v_fmac_f16_e32 v40, v7, v17
	v_mul_f16_sdwa v17, v3, v58 dst_sel:DWORD dst_unused:UNUSED_PAD src0_sel:WORD_1 src1_sel:DWORD
	v_fmac_f16_e32 v39, v1, v15
	v_fma_f16 v1, v1, v43, -v44
	v_fma_f16 v7, v7, v55, -v45
	v_mul_f16_sdwa v44, v2, v38 dst_sel:DWORD dst_unused:UNUSED_PAD src0_sel:WORD_1 src1_sel:DWORD
	v_mul_f16_sdwa v45, v4, v42 dst_sel:DWORD dst_unused:UNUSED_PAD src0_sel:WORD_1 src1_sel:DWORD
	v_fmac_f16_e32 v17, v3, v22
	v_mul_f16_sdwa v22, v6, v41 dst_sel:DWORD dst_unused:UNUSED_PAD src0_sel:WORD_1 src1_sel:DWORD
	v_mul_f16_sdwa v49, v34, v37 dst_sel:DWORD dst_unused:UNUSED_PAD src0_sel:WORD_1 src1_sel:DWORD
	v_fmac_f16_e32 v44, v2, v16
	v_fmac_f16_e32 v45, v4, v23
	v_mul_f16_sdwa v50, v0, v26 dst_sel:DWORD dst_unused:UNUSED_PAD src0_sel:WORD_1 src1_sel:DWORD
	v_fmac_f16_e32 v22, v6, v25
	v_fmac_f16_e32 v49, v34, v18
	v_mul_f16_sdwa v23, v4, v23 dst_sel:DWORD dst_unused:UNUSED_PAD src0_sel:WORD_1 src1_sel:DWORD
	v_mul_f16_sdwa v25, v6, v25 dst_sel:DWORD dst_unused:UNUSED_PAD src0_sel:WORD_1 src1_sel:DWORD
	;; [unrolled: 1-line block ×5, first 2 shown]
	v_fma_f16 v21, v3, v58, -v21
	v_mul_f16_sdwa v3, v5, v56 dst_sel:DWORD dst_unused:UNUSED_PAD src0_sel:WORD_1 src1_sel:DWORD
	v_fmac_f16_e32 v50, v0, v20
	v_fma_f16 v4, v4, v42, -v23
	v_mul_f16_sdwa v20, v0, v20 dst_sel:DWORD dst_unused:UNUSED_PAD src0_sel:WORD_1 src1_sel:DWORD
	v_fma_f16 v6, v6, v41, -v25
	v_fma_f16 v2, v2, v38, -v16
	;; [unrolled: 1-line block ×3, first 2 shown]
	v_add_f16_e32 v51, v49, v44
	v_fma_f16 v35, v5, v56, -v35
	v_fmac_f16_e32 v3, v5, v24
	v_sub_f16_e32 v5, v44, v45
	v_add_f16_e32 v24, v22, v45
	v_sub_f16_e32 v18, v49, v22
	v_fma_f16 v0, v0, v26, -v20
	v_add_f16_e32 v20, v6, v4
	v_sub_f16_e32 v34, v4, v6
	v_sub_f16_e32 v37, v2, v4
	;; [unrolled: 1-line block ×3, first 2 shown]
	v_fma_f16 v51, -0.5, v51, v50
	v_fma_f16 v23, -0.5, v24, v50
	v_sub_f16_e32 v24, v2, v16
	v_add_f16_e32 v5, v18, v5
	v_fma_f16 v18, -0.5, v20, v0
	v_sub_f16_e32 v20, v44, v49
	v_add_f16_e32 v37, v38, v37
	v_add_f16_e32 v38, v16, v2
	v_fmamk_f16 v58, v34, 0xbb9c, v51
	v_fmac_f16_e32 v51, 0x3b9c, v34
	v_add_f16_e32 v15, v35, v21
	v_sub_f16_e32 v46, v1, v21
	v_sub_f16_e32 v47, v7, v35
	v_fmamk_f16 v26, v24, 0x3b9c, v23
	v_fmamk_f16 v41, v20, 0xbb9c, v18
	v_sub_f16_e32 v42, v45, v22
	v_fma_f16 v38, -0.5, v38, v0
	v_fmac_f16_e32 v58, 0x38b4, v24
	v_fmac_f16_e32 v18, 0x3b9c, v20
	;; [unrolled: 1-line block ×4, first 2 shown]
	v_add_f16_e32 v24, v1, v36
	v_add_f16_e32 v0, v2, v0
	v_sub_f16_e32 v43, v39, v40
	v_fma_f16 v15, -0.5, v15, v36
	v_add_f16_e32 v46, v47, v46
	v_fmac_f16_e32 v41, 0xb8b4, v42
	v_add_f16_e32 v47, v7, v1
	v_fmamk_f16 v55, v42, 0x3b9c, v38
	v_fmac_f16_e32 v38, 0xbb9c, v42
	v_fmac_f16_e32 v18, 0x38b4, v42
	v_add_f16_e32 v24, v21, v24
	v_add_f16_e32 v0, v4, v0
	v_add_f16_e32 v42, v40, v39
	v_fmamk_f16 v48, v43, 0xbb9c, v15
	v_sub_f16_e32 v25, v17, v3
	v_fmac_f16_e32 v41, 0x34f2, v37
	v_sub_f16_e32 v52, v21, v1
	v_fma_f16 v47, -0.5, v47, v36
	v_sub_f16_e32 v53, v4, v2
	v_sub_f16_e32 v54, v6, v16
	;; [unrolled: 1-line block ×4, first 2 shown]
	v_fmac_f16_e32 v15, 0x3b9c, v43
	v_add_f16_e32 v24, v35, v24
	v_sub_f16_e32 v4, v39, v17
	v_sub_f16_e32 v36, v40, v3
	;; [unrolled: 1-line block ×3, first 2 shown]
	v_add_f16_e32 v0, v6, v0
	v_fma_f16 v6, -0.5, v42, v19
	v_fmac_f16_e32 v48, 0xb8b4, v25
	v_add_f16_e32 v53, v54, v53
	v_sub_f16_e32 v54, v35, v7
	v_fmamk_f16 v59, v25, 0x3b9c, v47
	v_add_f16_e32 v56, v57, v56
	v_mul_f16_e32 v57, 0xba79, v41
	v_fmac_f16_e32 v47, 0xbb9c, v25
	v_fmac_f16_e32 v15, 0x38b4, v25
	v_add_f16_e32 v25, v3, v17
	v_sub_f16_e32 v1, v1, v7
	v_add_f16_e32 v7, v7, v24
	v_add_f16_e32 v4, v36, v4
	v_mul_f16_e32 v24, 0xb8b4, v41
	v_sub_f16_e32 v35, v17, v39
	v_sub_f16_e32 v36, v3, v40
	v_fmamk_f16 v41, v21, 0xbb9c, v6
	v_fmac_f16_e32 v6, 0x3b9c, v21
	v_fma_f16 v25, -0.5, v25, v19
	v_add_f16_e32 v0, v16, v0
	v_add_f16_e32 v16, v36, v35
	v_fmac_f16_e32 v41, 0x38b4, v1
	v_fmac_f16_e32 v6, 0xb8b4, v1
	v_add_f16_e32 v19, v39, v19
	v_add_f16_e32 v39, v44, v50
	v_fmac_f16_e32 v55, 0xb8b4, v20
	v_fmac_f16_e32 v38, 0x38b4, v20
	v_fmac_f16_e32 v26, 0x38b4, v34
	v_fmac_f16_e32 v23, 0xb8b4, v34
	v_fmac_f16_e32 v18, 0x34f2, v37
	v_fmamk_f16 v37, v1, 0x3b9c, v25
	v_fmac_f16_e32 v41, 0x34f2, v16
	v_fmac_f16_e32 v25, 0xbb9c, v1
	;; [unrolled: 1-line block ×3, first 2 shown]
	v_add_f16_e32 v1, v17, v19
	v_add_f16_e32 v16, v45, v39
	v_fmac_f16_e32 v55, 0x34f2, v53
	v_fmac_f16_e32 v38, 0x34f2, v53
	;; [unrolled: 1-line block ×4, first 2 shown]
	v_mul_f16_e32 v5, 0x3a79, v18
	v_fmac_f16_e32 v25, 0xb8b4, v21
	v_mul_f16_e32 v18, 0xb8b4, v18
	v_add_f16_e32 v1, v3, v1
	v_add_f16_e32 v3, v22, v16
	v_mov_b32_e32 v19, 0x6e
	v_add_f16_e32 v52, v54, v52
	v_fmac_f16_e32 v59, 0xb8b4, v43
	v_fmac_f16_e32 v58, 0x34f2, v56
	v_mul_f16_e32 v54, 0xb4f2, v55
	v_fmac_f16_e32 v47, 0x38b4, v43
	v_fmac_f16_e32 v51, 0x34f2, v56
	v_mul_f16_e32 v20, 0x34f2, v38
	v_mul_f16_e32 v36, 0xbb9c, v55
	;; [unrolled: 1-line block ×3, first 2 shown]
	v_fmac_f16_e32 v37, 0x38b4, v21
	v_fmac_f16_e32 v15, 0x34f2, v46
	;; [unrolled: 1-line block ×5, first 2 shown]
	v_add_f16_e32 v1, v40, v1
	v_add_f16_e32 v3, v49, v3
	v_mul_u32_u24_sdwa v19, v33, v19 dst_sel:DWORD dst_unused:UNUSED_PAD src0_sel:WORD_0 src1_sel:DWORD
	v_fmac_f16_e32 v59, 0x34f2, v52
	v_fmac_f16_e32 v54, 0x3b9c, v58
	;; [unrolled: 1-line block ×10, first 2 shown]
	v_sub_f16_e32 v2, v15, v5
	v_sub_f16_e32 v26, v7, v0
	v_sub_f16_e32 v22, v1, v3
	v_add_f16_e32 v5, v15, v5
	v_add_f16_e32 v0, v7, v0
	v_add_nc_u32_e32 v15, v19, v32
	v_add_f16_e32 v1, v1, v3
	v_add_f16_e32 v3, v25, v18
	v_sub_f16_e32 v34, v47, v20
	v_sub_f16_e32 v16, v6, v17
	v_add_f16_e32 v38, v59, v54
	v_add_f16_e32 v20, v47, v20
	;; [unrolled: 1-line block ×6, first 2 shown]
	v_sub_f16_e32 v21, v25, v18
	v_sub_f16_e32 v60, v48, v57
	v_sub_f16_e32 v61, v59, v54
	v_sub_f16_e32 v35, v37, v24
	v_sub_f16_e32 v4, v41, v36
	v_lshl_add_u32 v15, v15, 2, v30
	v_pack_b32_f16 v0, v1, v0
	v_pack_b32_f16 v1, v3, v5
	;; [unrolled: 1-line block ×10, first 2 shown]
	ds_write2_b32 v15, v0, v1 offset1:11
	ds_write2_b32 v15, v3, v5 offset0:22 offset1:33
	ds_write2_b32 v15, v6, v7 offset0:44 offset1:55
	;; [unrolled: 1-line block ×4, first 2 shown]
.LBB0_21:
	s_or_b32 exec_lo, exec_lo, s1
	s_waitcnt lgkmcnt(0)
	s_barrier
	buffer_gl0_inv
	ds_read2_b32 v[0:1], v31 offset1:110
	v_add_nc_u32_e32 v2, 0x200, v31
	v_add_nc_u32_e32 v4, 0x600, v31
	ds_read_b32 v6, v31 offset:2640
	ds_read2_b32 v[2:3], v2 offset0:92 offset1:202
	ds_read2_b32 v[4:5], v4 offset0:56 offset1:166
	s_waitcnt lgkmcnt(3)
	v_lshrrev_b32_e32 v7, 16, v1
	v_mul_f16_sdwa v16, v8, v1 dst_sel:DWORD dst_unused:UNUSED_PAD src0_sel:WORD_1 src1_sel:DWORD
	s_waitcnt lgkmcnt(2)
	v_lshrrev_b32_e32 v15, 16, v6
	v_mul_f16_sdwa v17, v14, v6 dst_sel:DWORD dst_unused:UNUSED_PAD src0_sel:WORD_1 src1_sel:DWORD
	s_waitcnt lgkmcnt(1)
	v_lshrrev_b32_e32 v18, 16, v2
	v_lshrrev_b32_e32 v19, 16, v3
	s_waitcnt lgkmcnt(0)
	v_lshrrev_b32_e32 v21, 16, v5
	v_mul_f16_sdwa v22, v8, v7 dst_sel:DWORD dst_unused:UNUSED_PAD src0_sel:WORD_1 src1_sel:DWORD
	v_fma_f16 v7, v8, v7, -v16
	v_mul_f16_sdwa v16, v9, v2 dst_sel:DWORD dst_unused:UNUSED_PAD src0_sel:WORD_1 src1_sel:DWORD
	v_mul_f16_sdwa v23, v10, v3 dst_sel:DWORD dst_unused:UNUSED_PAD src0_sel:WORD_1 src1_sel:DWORD
	v_lshrrev_b32_e32 v20, 16, v4
	v_mul_f16_sdwa v25, v13, v5 dst_sel:DWORD dst_unused:UNUSED_PAD src0_sel:WORD_1 src1_sel:DWORD
	v_mul_f16_sdwa v26, v14, v15 dst_sel:DWORD dst_unused:UNUSED_PAD src0_sel:WORD_1 src1_sel:DWORD
	v_fma_f16 v15, v14, v15, -v17
	v_fmac_f16_e32 v22, v8, v1
	v_mul_f16_sdwa v1, v9, v18 dst_sel:DWORD dst_unused:UNUSED_PAD src0_sel:WORD_1 src1_sel:DWORD
	v_fma_f16 v8, v9, v18, -v16
	v_mul_f16_sdwa v16, v10, v19 dst_sel:DWORD dst_unused:UNUSED_PAD src0_sel:WORD_1 src1_sel:DWORD
	v_fma_f16 v17, v10, v19, -v23
	v_mul_f16_sdwa v19, v13, v21 dst_sel:DWORD dst_unused:UNUSED_PAD src0_sel:WORD_1 src1_sel:DWORD
	v_mul_f16_sdwa v24, v11, v4 dst_sel:DWORD dst_unused:UNUSED_PAD src0_sel:WORD_1 src1_sel:DWORD
	;; [unrolled: 1-line block ×3, first 2 shown]
	v_fmac_f16_e32 v26, v14, v6
	v_fmac_f16_e32 v1, v9, v2
	;; [unrolled: 1-line block ×4, first 2 shown]
	v_fma_f16 v3, v13, v21, -v25
	v_fmac_f16_e32 v18, v11, v4
	v_fma_f16 v2, v11, v20, -v24
	v_add_f16_e32 v4, v22, v26
	v_add_f16_e32 v5, v7, v15
	v_add_f16_e32 v9, v1, v19
	v_add_f16_e32 v10, v8, v3
	v_sub_f16_e32 v6, v22, v26
	v_sub_f16_e32 v7, v7, v15
	;; [unrolled: 1-line block ×4, first 2 shown]
	v_add_f16_e32 v8, v16, v18
	v_add_f16_e32 v11, v17, v2
	v_sub_f16_e32 v13, v18, v16
	v_sub_f16_e32 v2, v2, v17
	v_add_f16_e32 v14, v9, v4
	v_add_f16_e32 v15, v10, v5
	v_sub_f16_e32 v16, v9, v4
	v_sub_f16_e32 v17, v10, v5
	;; [unrolled: 1-line block ×6, first 2 shown]
	v_add_f16_e32 v18, v13, v1
	v_add_f16_e32 v19, v2, v3
	v_sub_f16_e32 v20, v13, v1
	v_sub_f16_e32 v21, v2, v3
	;; [unrolled: 1-line block ×3, first 2 shown]
	v_add_f16_e32 v8, v8, v14
	v_add_f16_e32 v11, v11, v15
	v_sub_f16_e32 v3, v3, v7
	v_sub_f16_e32 v13, v6, v13
	;; [unrolled: 1-line block ×3, first 2 shown]
	v_add_f16_e32 v6, v18, v6
	v_add_f16_e32 v7, v19, v7
	;; [unrolled: 1-line block ×3, first 2 shown]
	v_add_f16_sdwa v0, v0, v11 dst_sel:DWORD dst_unused:UNUSED_PAD src0_sel:WORD_1 src1_sel:DWORD
	v_mul_f16_e32 v4, 0x3a52, v4
	v_mul_f16_e32 v5, 0x3a52, v5
	;; [unrolled: 1-line block ×8, first 2 shown]
	v_fmamk_f16 v8, v8, 0xbcab, v14
	v_fmamk_f16 v11, v11, 0xbcab, v0
	v_fmamk_f16 v9, v9, 0x2b26, v4
	v_fmamk_f16 v10, v10, 0x2b26, v5
	v_fma_f16 v15, v16, 0x39e0, -v15
	v_fma_f16 v18, v17, 0x39e0, -v18
	;; [unrolled: 1-line block ×4, first 2 shown]
	v_fmamk_f16 v16, v13, 0xb574, v19
	v_fmamk_f16 v17, v2, 0xb574, v20
	v_fma_f16 v1, v1, 0xbb00, -v19
	v_fma_f16 v3, v3, 0xbb00, -v20
	;; [unrolled: 1-line block ×4, first 2 shown]
	v_add_f16_e32 v9, v9, v8
	v_add_f16_e32 v10, v10, v11
	;; [unrolled: 1-line block ×6, first 2 shown]
	v_fmac_f16_e32 v16, 0xb70e, v6
	v_fmac_f16_e32 v17, 0xb70e, v7
	;; [unrolled: 1-line block ×6, first 2 shown]
	v_add_f16_e32 v6, v17, v9
	v_sub_f16_e32 v7, v10, v16
	v_add_f16_e32 v8, v2, v4
	v_add_f16_e32 v20, v1, v18
	v_sub_f16_e32 v19, v15, v3
	v_add_f16_e32 v3, v3, v15
	v_sub_f16_e32 v1, v18, v1
	v_sub_f16_e32 v2, v4, v2
	v_add_f16_e32 v4, v13, v5
	v_sub_f16_e32 v11, v5, v13
	v_sub_f16_e32 v5, v9, v17
	v_add_f16_e32 v9, v16, v10
	v_pack_b32_f16 v10, v14, v0
	v_pack_b32_f16 v6, v6, v7
	v_add_nc_u32_e32 v0, 0x200, v29
	v_pack_b32_f16 v1, v3, v1
	v_pack_b32_f16 v3, v2, v4
	v_add_nc_u32_e32 v2, 0x600, v29
	v_pack_b32_f16 v7, v8, v11
	v_pack_b32_f16 v8, v19, v20
	;; [unrolled: 1-line block ×3, first 2 shown]
	ds_write2_b32 v29, v10, v6 offset1:110
	ds_write2_b32 v0, v7, v8 offset0:92 offset1:202
	ds_write2_b32 v2, v1, v3 offset0:56 offset1:166
	ds_write_b32 v29, v4 offset:2640
	s_waitcnt lgkmcnt(0)
	s_barrier
	buffer_gl0_inv
	s_and_b32 exec_lo, exec_lo, vcc_lo
	s_cbranch_execz .LBB0_23
; %bb.22:
	s_clause 0x5
	global_load_dword v3, v28, s[10:11]
	global_load_dword v4, v28, s[10:11] offset:280
	global_load_dword v10, v28, s[10:11] offset:560
	global_load_dword v11, v28, s[10:11] offset:840
	global_load_dword v13, v28, s[10:11] offset:1120
	global_load_dword v14, v28, s[10:11] offset:1400
	v_mad_u64_u32 v[15:16], null, s6, v12, 0
	v_mad_u64_u32 v[17:18], null, s4, v27, 0
	v_add_co_u32 v1, s0, s10, v28
	ds_read2_b32 v[21:22], v0 offset0:82 offset1:152
	ds_read_b32 v30, v29
	v_mov_b32_e32 v0, v16
	v_add_co_ci_u32_e64 v8, null, s11, 0, s0
	v_mov_b32_e32 v7, v18
	ds_read2_b32 v[19:20], v29 offset0:70 offset1:140
	v_mad_u64_u32 v[23:24], null, s7, v12, v[0:1]
	v_add_co_u32 v24, vcc_lo, 0x800, v1
	v_mad_u64_u32 v[26:27], null, s5, v27, v[7:8]
	v_add_co_ci_u32_e32 v25, vcc_lo, 0, v8, vcc_lo
	v_mov_b32_e32 v16, v23
	v_add_nc_u32_e32 v9, 0x400, v29
	s_clause 0x1
	global_load_dword v5, v28, s[10:11] offset:1680
	global_load_dword v6, v28, s[10:11] offset:1960
	s_mov_b32 s18, 0xe6bb82fe
	v_mov_b32_e32 v18, v26
	v_lshlrev_b64 v[15:16], 2, v[15:16]
	s_waitcnt lgkmcnt(1)
	v_lshrrev_b32_e32 v12, 16, v30
	ds_read2_b32 v[0:1], v9 offset0:94 offset1:164
	s_clause 0x1
	global_load_dword v8, v[24:25], off offset:192
	global_load_dword v7, v[24:25], off offset:472
	v_lshlrev_b64 v[17:18], 2, v[17:18]
	global_load_dword v9, v[24:25], off offset:752
	v_add_co_u32 v15, vcc_lo, s8, v15
	v_add_co_ci_u32_e32 v16, vcc_lo, s9, v16, vcc_lo
	s_waitcnt lgkmcnt(1)
	v_lshrrev_b32_e32 v23, 16, v19
	v_add_co_u32 v15, vcc_lo, v15, v17
	v_lshrrev_b32_e32 v24, 16, v20
	v_add_co_ci_u32_e32 v16, vcc_lo, v16, v18, vcc_lo
	v_lshrrev_b32_e32 v25, 16, v21
	v_lshrrev_b32_e32 v26, 16, v22
	s_mov_b32 s19, 0x3f554725
	s_mul_i32 s0, s5, 0x118
	s_mul_hi_u32 s20, s4, 0x118
	s_mul_i32 s17, s4, 0x118
	s_waitcnt lgkmcnt(0)
	v_lshrrev_b32_e32 v34, 16, v0
	s_add_i32 s20, s20, s0
	s_waitcnt vmcnt(10)
	v_mul_f16_sdwa v17, v12, v3 dst_sel:DWORD dst_unused:UNUSED_PAD src0_sel:DWORD src1_sel:WORD_1
	v_mul_f16_sdwa v18, v30, v3 dst_sel:DWORD dst_unused:UNUSED_PAD src0_sel:DWORD src1_sel:WORD_1
	s_waitcnt vmcnt(9)
	v_mul_f16_sdwa v27, v23, v4 dst_sel:DWORD dst_unused:UNUSED_PAD src0_sel:DWORD src1_sel:WORD_1
	v_mul_f16_sdwa v28, v19, v4 dst_sel:DWORD dst_unused:UNUSED_PAD src0_sel:DWORD src1_sel:WORD_1
	s_waitcnt vmcnt(8)
	v_mul_f16_sdwa v31, v24, v10 dst_sel:DWORD dst_unused:UNUSED_PAD src0_sel:DWORD src1_sel:WORD_1
	v_fmac_f16_e32 v17, v30, v3
	v_mul_f16_sdwa v32, v20, v10 dst_sel:DWORD dst_unused:UNUSED_PAD src0_sel:DWORD src1_sel:WORD_1
	v_fma_f16 v3, v3, v12, -v18
	v_fmac_f16_e32 v27, v19, v4
	v_fma_f16 v12, v4, v23, -v28
	v_cvt_f32_f16_e32 v4, v17
	s_waitcnt vmcnt(7)
	v_mul_f16_sdwa v33, v25, v11 dst_sel:DWORD dst_unused:UNUSED_PAD src0_sel:DWORD src1_sel:WORD_1
	v_mul_f16_sdwa v35, v21, v11 dst_sel:DWORD dst_unused:UNUSED_PAD src0_sel:DWORD src1_sel:WORD_1
	s_waitcnt vmcnt(6)
	v_mul_f16_sdwa v36, v26, v13 dst_sel:DWORD dst_unused:UNUSED_PAD src0_sel:DWORD src1_sel:WORD_1
	v_mul_f16_sdwa v37, v22, v13 dst_sel:DWORD dst_unused:UNUSED_PAD src0_sel:DWORD src1_sel:WORD_1
	v_fmac_f16_e32 v31, v20, v10
	v_fma_f16 v18, v10, v24, -v32
	v_cvt_f32_f16_e32 v10, v3
	v_cvt_f64_f32_e32 v[3:4], v4
	v_fmac_f16_e32 v33, v21, v11
	v_fma_f16 v19, v11, v25, -v35
	v_fmac_f16_e32 v36, v22, v13
	v_fma_f16 v20, v13, v26, -v37
	v_cvt_f64_f32_e32 v[10:11], v10
	v_cvt_f32_f16_e32 v13, v27
	s_waitcnt vmcnt(5)
	v_mul_f16_sdwa v38, v34, v14 dst_sel:DWORD dst_unused:UNUSED_PAD src0_sel:DWORD src1_sel:WORD_1
	v_cvt_f32_f16_e32 v17, v12
	v_mul_f16_sdwa v39, v0, v14 dst_sel:DWORD dst_unused:UNUSED_PAD src0_sel:DWORD src1_sel:WORD_1
	v_cvt_f32_f16_e32 v21, v18
	v_cvt_f64_f32_e32 v[12:13], v13
	v_fmac_f16_e32 v38, v0, v14
	v_cvt_f32_f16_e32 v0, v31
	v_cvt_f64_f32_e32 v[17:18], v17
	v_cvt_f32_f16_e32 v25, v19
	v_cvt_f32_f16_e32 v30, v20
	;; [unrolled: 1-line block ×3, first 2 shown]
	v_cvt_f64_f32_e32 v[19:20], v0
	v_cvt_f64_f32_e32 v[21:22], v21
	v_fma_f16 v0, v14, v34, -v39
	v_cvt_f32_f16_e32 v27, v36
	v_mul_f64 v[3:4], v[3:4], s[18:19]
	v_cvt_f64_f32_e32 v[23:24], v23
	v_cvt_f64_f32_e32 v[25:26], v25
	v_cvt_f32_f16_e32 v0, v0
	v_cvt_f64_f32_e32 v[27:28], v27
	v_mul_f64 v[10:11], v[10:11], s[18:19]
	v_add_co_u32 v34, vcc_lo, v15, s17
	v_add_co_ci_u32_e32 v35, vcc_lo, s20, v16, vcc_lo
	v_cvt_f32_f16_e32 v32, v38
	v_mul_f64 v[12:13], v[12:13], s[18:19]
	v_cvt_f64_f32_e32 v[38:39], v0
	v_cvt_f64_f32_e32 v[30:31], v30
	v_mul_f64 v[17:18], v[17:18], s[18:19]
	v_add_co_u32 v36, vcc_lo, v34, s17
	v_add_co_ci_u32_e32 v37, vcc_lo, s20, v35, vcc_lo
	v_mul_f64 v[19:20], v[19:20], s[18:19]
	v_mul_f64 v[21:22], v[21:22], s[18:19]
	v_cvt_f64_f32_e32 v[32:33], v32
	v_and_or_b32 v0, 0x1ff, v4, v3
	v_mul_f64 v[23:24], v[23:24], s[18:19]
	v_mul_f64 v[25:26], v[25:26], s[18:19]
	v_lshrrev_b32_e32 v3, 8, v4
	v_mul_f64 v[27:28], v[27:28], s[18:19]
	v_and_or_b32 v10, 0x1ff, v11, v10
	v_cmp_ne_u32_e32 vcc_lo, 0, v0
	v_bfe_u32 v14, v4, 20, 11
	v_lshrrev_b32_e32 v40, 8, v11
	v_bfe_u32 v41, v11, 20, 11
	v_lshrrev_b32_e32 v4, 16, v4
	v_and_or_b32 v12, 0x1ff, v13, v12
	v_cndmask_b32_e64 v0, 0, 1, vcc_lo
	v_cmp_ne_u32_e32 vcc_lo, 0, v10
	v_and_or_b32 v17, 0x1ff, v18, v17
	v_mul_f64 v[30:31], v[30:31], s[18:19]
	v_lshrrev_b32_e32 v42, 8, v13
	v_and_or_b32 v0, 0xffe, v3, v0
	v_cndmask_b32_e64 v10, 0, 1, vcc_lo
	v_cmp_ne_u32_e32 vcc_lo, 0, v12
	v_and_or_b32 v19, 0x1ff, v20, v19
	v_and_or_b32 v21, 0x1ff, v22, v21
	v_mul_f64 v[32:33], v[32:33], s[18:19]
	v_and_or_b32 v23, 0x1ff, v24, v23
	v_cndmask_b32_e64 v12, 0, 1, vcc_lo
	v_cmp_ne_u32_e32 vcc_lo, 0, v17
	v_and_or_b32 v25, 0x1ff, v26, v25
	v_and_or_b32 v27, 0x1ff, v28, v27
	v_bfe_u32 v43, v13, 20, 11
	v_bfe_u32 v45, v18, 20, 11
	v_cndmask_b32_e64 v17, 0, 1, vcc_lo
	v_cmp_ne_u32_e32 vcc_lo, 0, v19
	v_sub_nc_u32_e32 v60, 0x3f1, v14
	v_add_nc_u32_e32 v14, 0xfffffc10, v14
	v_sub_nc_u32_e32 v61, 0x3f1, v41
	v_and_or_b32 v10, 0xffe, v40, v10
	v_cndmask_b32_e64 v19, 0, 1, vcc_lo
	v_cmp_ne_u32_e32 vcc_lo, 0, v21
	v_and_or_b32 v30, 0x1ff, v31, v30
	v_lshrrev_b32_e32 v44, 8, v18
	v_bfe_u32 v47, v20, 20, 11
	v_bfe_u32 v49, v22, 20, 11
	v_cndmask_b32_e64 v21, 0, 1, vcc_lo
	v_cmp_ne_u32_e32 vcc_lo, 0, v23
	v_and_or_b32 v32, 0x1ff, v33, v32
	v_add_nc_u32_e32 v41, 0xfffffc10, v41
	v_sub_nc_u32_e32 v62, 0x3f1, v43
	v_sub_nc_u32_e32 v63, 0x3f1, v45
	v_cndmask_b32_e64 v23, 0, 1, vcc_lo
	v_cmp_ne_u32_e32 vcc_lo, 0, v25
	v_med3_i32 v3, v60, 0, 13
	v_med3_i32 v40, v61, 0, 13
	v_and_or_b32 v12, 0xffe, v42, v12
	v_or_b32_e32 v60, 0x1000, v0
	v_cndmask_b32_e64 v25, 0, 1, vcc_lo
	v_cmp_ne_u32_e32 vcc_lo, 0, v27
	v_lshl_or_b32 v61, v14, 12, v0
	v_lshrrev_b32_e32 v46, 8, v20
	v_lshrrev_b32_e32 v48, 8, v22
	v_bfe_u32 v51, v24, 20, 11
	v_cndmask_b32_e64 v27, 0, 1, vcc_lo
	v_cmp_ne_u32_e32 vcc_lo, 0, v30
	v_bfe_u32 v53, v26, 20, 11
	v_add_nc_u32_e32 v43, 0xfffffc10, v43
	v_sub_nc_u32_e32 v64, 0x3f1, v47
	v_sub_nc_u32_e32 v65, 0x3f1, v49
	v_cndmask_b32_e64 v30, 0, 1, vcc_lo
	v_cmp_ne_u32_e32 vcc_lo, 0, v32
	v_med3_i32 v42, v62, 0, 13
	v_and_or_b32 v17, 0xffe, v44, v17
	v_med3_i32 v44, v63, 0, 13
	v_or_b32_e32 v62, 0x1000, v10
	v_cndmask_b32_e64 v32, 0, 1, vcc_lo
	v_cmp_ne_u32_e32 vcc_lo, 0, v0
	v_lshl_or_b32 v63, v41, 12, v10
	v_lshrrev_b32_e32 v50, 8, v24
	v_lshrrev_b32_e32 v52, 8, v26
	v_bfe_u32 v55, v28, 20, 11
	v_cndmask_b32_e64 v0, 0, 1, vcc_lo
	v_cmp_ne_u32_e32 vcc_lo, 0, v10
	v_bfe_u32 v57, v31, 20, 11
	v_add_nc_u32_e32 v45, 0xfffffc10, v45
	v_sub_nc_u32_e32 v66, 0x3f1, v51
	v_sub_nc_u32_e32 v67, 0x3f1, v53
	v_cndmask_b32_e64 v10, 0, 1, vcc_lo
	v_cmp_ne_u32_e32 vcc_lo, 0, v12
	v_and_or_b32 v19, 0xffe, v46, v19
	v_med3_i32 v46, v64, 0, 13
	v_and_or_b32 v21, 0xffe, v48, v21
	v_med3_i32 v48, v65, 0, 13
	v_or_b32_e32 v64, 0x1000, v12
	v_lshl_or_b32 v65, v43, 12, v12
	v_cndmask_b32_e64 v12, 0, 1, vcc_lo
	v_cmp_ne_u32_e32 vcc_lo, 0, v17
	v_lshrrev_b32_e32 v54, 8, v28
	v_lshrrev_b32_e32 v56, 8, v31
	v_add_nc_u32_e32 v47, 0xfffffc10, v47
	v_sub_nc_u32_e32 v68, 0x3f1, v55
	v_sub_nc_u32_e32 v69, 0x3f1, v57
	v_and_or_b32 v23, 0xffe, v50, v23
	v_med3_i32 v50, v66, 0, 13
	v_and_or_b32 v25, 0xffe, v52, v25
	v_med3_i32 v52, v67, 0, 13
	v_or_b32_e32 v66, 0x1000, v17
	v_lshl_or_b32 v67, v45, 12, v17
	v_cndmask_b32_e64 v17, 0, 1, vcc_lo
	v_cmp_ne_u32_e32 vcc_lo, 0, v19
	v_add_nc_u32_e32 v49, 0xfffffc10, v49
	v_and_or_b32 v27, 0xffe, v54, v27
	v_med3_i32 v54, v68, 0, 13
	v_and_or_b32 v30, 0xffe, v56, v30
	v_med3_i32 v56, v69, 0, 13
	v_or_b32_e32 v68, 0x1000, v19
	v_lshl_or_b32 v69, v47, 12, v19
	v_cndmask_b32_e64 v19, 0, 1, vcc_lo
	v_cmp_ne_u32_e32 vcc_lo, 0, v21
	v_add_nc_u32_e32 v51, 0xfffffc10, v51
	v_or_b32_e32 v70, 0x1000, v21
	v_lshl_or_b32 v71, v49, 12, v21
	v_add_nc_u32_e32 v53, 0xfffffc10, v53
	v_cndmask_b32_e64 v21, 0, 1, vcc_lo
	v_cmp_ne_u32_e32 vcc_lo, 0, v23
	v_or_b32_e32 v72, 0x1000, v23
	v_lshl_or_b32 v73, v51, 12, v23
	v_lshrrev_b32_e32 v80, v3, v60
	v_add_nc_u32_e32 v55, 0xfffffc10, v55
	v_cndmask_b32_e64 v23, 0, 1, vcc_lo
	v_cmp_ne_u32_e32 vcc_lo, 0, v25
	v_or_b32_e32 v74, 0x1000, v25
	v_lshl_or_b32 v75, v53, 12, v25
	v_lshrrev_b32_e32 v81, v40, v62
	v_lshlrev_b32_e32 v3, v3, v80
	v_cndmask_b32_e64 v25, 0, 1, vcc_lo
	v_cmp_ne_u32_e32 vcc_lo, 0, v27
	v_or_b32_e32 v76, 0x1000, v27
	v_lshl_or_b32 v77, v55, 12, v27
	v_lshrrev_b32_e32 v82, v42, v64
	v_lshlrev_b32_e32 v40, v40, v81
	v_cndmask_b32_e64 v27, 0, 1, vcc_lo
	v_cmp_ne_u32_e32 vcc_lo, v3, v60
	v_lshrrev_b32_e32 v83, v44, v66
	v_lshlrev_b32_e32 v42, v42, v82
	v_lshrrev_b32_e32 v84, v46, v68
	v_lshrrev_b32_e32 v85, v48, v70
	v_cndmask_b32_e64 v3, 0, 1, vcc_lo
	v_cmp_ne_u32_e32 vcc_lo, v40, v62
	v_lshlrev_b32_e32 v44, v44, v83
	v_lshlrev_b32_e32 v46, v46, v84
	v_lshrrev_b32_e32 v86, v50, v72
	v_lshlrev_b32_e32 v48, v48, v85
	v_cndmask_b32_e64 v40, 0, 1, vcc_lo
	v_cmp_ne_u32_e32 vcc_lo, v42, v64
	v_lshrrev_b32_e32 v87, v52, v74
	v_lshlrev_b32_e32 v50, v50, v86
	v_or_b32_e32 v78, 0x1000, v30
	v_lshrrev_b32_e32 v88, v54, v76
	v_cndmask_b32_e64 v42, 0, 1, vcc_lo
	v_cmp_ne_u32_e32 vcc_lo, v44, v66
	v_lshlrev_b32_e32 v52, v52, v87
	v_lshrrev_b32_e32 v89, v56, v78
	v_lshlrev_b32_e32 v54, v54, v88
	v_or_b32_e32 v3, v80, v3
	v_cndmask_b32_e64 v44, 0, 1, vcc_lo
	v_cmp_ne_u32_e32 vcc_lo, v46, v68
	v_lshlrev_b32_e32 v56, v56, v89
	v_or_b32_e32 v40, v81, v40
	v_or_b32_e32 v42, v82, v42
	;; [unrolled: 1-line block ×3, first 2 shown]
	v_cndmask_b32_e64 v46, 0, 1, vcc_lo
	v_cmp_ne_u32_e32 vcc_lo, v48, v70
	v_add_nc_u32_e32 v57, 0xfffffc10, v57
	v_lshl_or_b32 v0, v0, 9, 0x7c00
	v_lshl_or_b32 v10, v10, 9, 0x7c00
	v_or_b32_e32 v46, v84, v46
	v_cndmask_b32_e64 v48, 0, 1, vcc_lo
	v_cmp_ne_u32_e32 vcc_lo, v50, v72
	v_lshl_or_b32 v79, v57, 12, v30
	v_lshl_or_b32 v12, v12, 9, 0x7c00
	;; [unrolled: 1-line block ×3, first 2 shown]
	v_or_b32_e32 v48, v85, v48
	v_cndmask_b32_e64 v50, 0, 1, vcc_lo
	v_cmp_ne_u32_e32 vcc_lo, v52, v74
	v_lshl_or_b32 v19, v19, 9, 0x7c00
	v_lshl_or_b32 v21, v21, 9, 0x7c00
	v_lshrrev_b32_e32 v13, 16, v13
	v_or_b32_e32 v50, v86, v50
	v_cndmask_b32_e64 v52, 0, 1, vcc_lo
	v_cmp_ne_u32_e32 vcc_lo, v54, v76
	v_lshrrev_b32_e32 v11, 16, v11
	v_lshrrev_b32_e32 v20, 16, v20
	v_lshl_or_b32 v23, v23, 9, 0x7c00
	v_or_b32_e32 v52, v87, v52
	v_cndmask_b32_e64 v54, 0, 1, vcc_lo
	v_cmp_ne_u32_e32 vcc_lo, v56, v78
	v_lshrrev_b32_e32 v18, 16, v18
	v_lshrrev_b32_e32 v22, 16, v22
	v_lshl_or_b32 v25, v25, 9, 0x7c00
	v_or_b32_e32 v54, v88, v54
	v_cndmask_b32_e64 v56, 0, 1, vcc_lo
	v_cmp_gt_i32_e32 vcc_lo, 1, v14
	v_lshrrev_b32_e32 v24, 16, v24
	v_lshl_or_b32 v27, v27, 9, 0x7c00
	v_lshrrev_b32_e32 v58, 8, v33
	v_or_b32_e32 v56, v89, v56
	v_cndmask_b32_e32 v3, v61, v3, vcc_lo
	v_cmp_gt_i32_e32 vcc_lo, 1, v41
	v_bfe_u32 v59, v33, 20, 11
	v_lshrrev_b32_e32 v26, 16, v26
	v_lshrrev_b32_e32 v28, 16, v28
	v_and_b32_e32 v60, 7, v3
	v_cndmask_b32_e32 v40, v63, v40, vcc_lo
	v_cmp_gt_i32_e32 vcc_lo, 1, v43
	v_lshrrev_b32_e32 v3, 2, v3
	v_cmp_eq_u32_e64 s0, 3, v60
	v_and_b32_e32 v61, 7, v40
	v_cndmask_b32_e32 v42, v65, v42, vcc_lo
	v_cmp_gt_i32_e32 vcc_lo, 1, v45
	v_lshrrev_b32_e32 v40, 2, v40
	v_cmp_lt_i32_e64 s1, 5, v61
	v_and_b32_e32 v62, 7, v42
	v_cndmask_b32_e32 v44, v67, v44, vcc_lo
	v_cmp_gt_i32_e32 vcc_lo, 1, v47
	v_cmp_eq_u32_e64 s2, 3, v61
	v_lshrrev_b32_e32 v42, 2, v42
	v_cmp_lt_i32_e64 s3, 5, v62
	v_and_b32_e32 v63, 7, v44
	v_cndmask_b32_e32 v46, v69, v46, vcc_lo
	v_cmp_gt_i32_e32 vcc_lo, 1, v49
	v_cmp_eq_u32_e64 s4, 3, v62
	;; [unrolled: 6-line block ×6, first 2 shown]
	v_lshrrev_b32_e32 v52, 2, v52
	v_cmp_lt_i32_e64 s13, 5, v67
	v_and_b32_e32 v68, 7, v54
	v_cndmask_b32_e32 v56, v79, v56, vcc_lo
	v_cmp_lt_i32_e32 vcc_lo, 5, v60
	v_cmp_eq_u32_e64 s14, 3, v67
	v_lshrrev_b32_e32 v54, 2, v54
	v_cmp_lt_i32_e64 s15, 5, v68
	v_cmp_eq_u32_e64 s16, 3, v68
	s_or_b32 vcc_lo, s0, vcc_lo
	v_and_b32_e32 v69, 7, v56
	v_add_co_ci_u32_e32 v3, vcc_lo, 0, v3, vcc_lo
	s_or_b32 vcc_lo, s2, s1
	v_add_co_ci_u32_e32 v40, vcc_lo, 0, v40, vcc_lo
	s_or_b32 vcc_lo, s4, s3
	v_cmp_eq_u32_e64 s0, 3, v69
	v_add_co_ci_u32_e32 v42, vcc_lo, 0, v42, vcc_lo
	s_or_b32 vcc_lo, s6, s5
	v_add_co_ci_u32_e32 v44, vcc_lo, 0, v44, vcc_lo
	s_or_b32 vcc_lo, s8, s7
	;; [unrolled: 2-line block ×6, first 2 shown]
	v_add_co_ci_u32_e32 v54, vcc_lo, 0, v54, vcc_lo
	v_cmp_gt_i32_e32 vcc_lo, 31, v14
	v_cndmask_b32_e32 v3, 0x7c00, v3, vcc_lo
	v_cmp_gt_i32_e32 vcc_lo, 31, v41
	v_cndmask_b32_e32 v40, 0x7c00, v40, vcc_lo
	;; [unrolled: 2-line block ×9, first 2 shown]
	v_cmp_eq_u32_e32 vcc_lo, 0x40f, v14
	v_cndmask_b32_e32 v0, v3, v0, vcc_lo
	v_cmp_eq_u32_e32 vcc_lo, 0x40f, v41
	v_and_or_b32 v0, 0x8000, v4, v0
	v_cndmask_b32_e32 v3, v40, v10, vcc_lo
	v_cmp_eq_u32_e32 vcc_lo, 0x40f, v43
	v_and_b32_e32 v0, 0xffff, v0
	v_and_or_b32 v3, 0x8000, v11, v3
	v_cndmask_b32_e32 v10, v42, v12, vcc_lo
	v_cmp_eq_u32_e32 vcc_lo, 0x40f, v45
	v_lshl_or_b32 v0, v3, 16, v0
	v_and_or_b32 v4, 0x8000, v13, v10
	v_cndmask_b32_e32 v12, v44, v17, vcc_lo
	v_cmp_eq_u32_e32 vcc_lo, 0x40f, v47
	v_and_b32_e32 v4, 0xffff, v4
	v_and_or_b32 v10, 0x8000, v18, v12
	v_cndmask_b32_e32 v14, v46, v19, vcc_lo
	v_cmp_eq_u32_e32 vcc_lo, 0x40f, v49
	v_lshl_or_b32 v3, v10, 16, v4
	v_and_or_b32 v11, 0x8000, v20, v14
	v_cndmask_b32_e32 v17, v48, v21, vcc_lo
	v_cmp_eq_u32_e32 vcc_lo, 0x40f, v51
	v_lshrrev_b32_e32 v20, 16, v31
	v_and_b32_e32 v11, 0xffff, v11
	v_and_or_b32 v12, 0x8000, v22, v17
	v_cndmask_b32_e32 v19, v50, v23, vcc_lo
	v_cmp_eq_u32_e32 vcc_lo, 0x40f, v53
	v_lshl_or_b32 v4, v12, 16, v11
	v_and_or_b32 v13, 0x8000, v24, v19
	v_cndmask_b32_e32 v21, v52, v25, vcc_lo
	v_cmp_eq_u32_e32 vcc_lo, 0x40f, v55
	global_store_dword v[15:16], v0, off
	global_store_dword v[34:35], v3, off
	;; [unrolled: 1-line block ×3, first 2 shown]
	v_mul_f64 v[3:4], v[38:39], s[18:19]
	v_lshrrev_b32_e32 v11, 2, v56
	v_and_or_b32 v16, 0xffe, v58, v32
	v_cndmask_b32_e32 v10, v54, v27, vcc_lo
	v_cmp_lt_i32_e32 vcc_lo, 5, v69
	v_sub_nc_u32_e32 v0, 0x3f1, v59
	v_and_or_b32 v14, 0x8000, v26, v21
	v_and_b32_e32 v13, 0xffff, v13
	v_or_b32_e32 v12, 0x1000, v16
	s_or_b32 vcc_lo, s0, vcc_lo
	v_med3_i32 v0, v0, 0, 13
	v_add_co_ci_u32_e32 v11, vcc_lo, 0, v11, vcc_lo
	v_cmp_ne_u32_e32 vcc_lo, 0, v30
	v_lshl_or_b32 v17, v14, 16, v13
	v_lshrrev_b32_e32 v14, 16, v1
	v_lshrrev_b32_e32 v15, v0, v12
	v_and_or_b32 v19, 0x8000, v28, v10
	v_cndmask_b32_e64 v13, 0, 1, vcc_lo
	v_cmp_gt_i32_e32 vcc_lo, 31, v57
	s_waitcnt vmcnt(4)
	v_mul_f16_sdwa v18, v14, v5 dst_sel:DWORD dst_unused:UNUSED_PAD src0_sel:DWORD src1_sel:WORD_1
	v_lshlrev_b32_e32 v0, v0, v15
	v_and_or_b32 v3, 0x1ff, v4, v3
	v_lshl_or_b32 v13, v13, 9, 0x7c00
	v_cndmask_b32_e32 v11, 0x7c00, v11, vcc_lo
	v_cmp_eq_u32_e32 vcc_lo, 0x40f, v57
	v_fmac_f16_e32 v18, v1, v5
	v_bfe_u32 v21, v4, 20, 11
	v_mul_f16_sdwa v25, v1, v5 dst_sel:DWORD dst_unused:UNUSED_PAD src0_sel:DWORD src1_sel:WORD_1
	v_cndmask_b32_e32 v13, v11, v13, vcc_lo
	v_cmp_ne_u32_e32 vcc_lo, v0, v12
	v_cvt_f32_f16_e32 v10, v18
	v_lshrrev_b32_e32 v12, 8, v4
	v_add_nc_u32_e32 v18, 0xfffffc10, v59
	v_and_or_b32 v20, 0x8000, v20, v13
	v_cndmask_b32_e64 v0, 0, 1, vcc_lo
	v_cmp_ne_u32_e32 vcc_lo, 0, v3
	v_cvt_f64_f32_e32 v[10:11], v10
	v_lshl_or_b32 v13, v18, 12, v16
	v_fma_f16 v5, v5, v14, -v25
	v_or_b32_e32 v0, v15, v0
	v_cndmask_b32_e64 v3, 0, 1, vcc_lo
	v_cmp_gt_i32_e32 vcc_lo, 1, v18
	v_and_b32_e32 v15, 0xffff, v19
	v_cvt_f32_f16_e32 v5, v5
	v_and_or_b32 v22, 0xffe, v12, v3
	v_sub_nc_u32_e32 v3, 0x3f1, v21
	v_cndmask_b32_e32 v19, v13, v0, vcc_lo
	v_add_co_u32 v12, vcc_lo, v36, s17
	v_or_b32_e32 v23, 0x1000, v22
	v_med3_i32 v3, v3, 0, 13
	v_add_co_ci_u32_e32 v13, vcc_lo, s20, v37, vcc_lo
	v_lshl_or_b32 v20, v20, 16, v15
	v_and_b32_e32 v15, 7, v19
	v_lshrrev_b32_e32 v24, v3, v23
	v_add_co_u32 v0, vcc_lo, v12, s17
	v_mul_f64 v[10:11], v[10:11], s[18:19]
	v_add_co_ci_u32_e32 v1, vcc_lo, s20, v13, vcc_lo
	v_lshlrev_b32_e32 v3, v3, v24
	v_cmp_lt_i32_e32 vcc_lo, 5, v15
	v_cmp_eq_u32_e64 s0, 3, v15
	v_lshrrev_b32_e32 v14, 2, v19
	v_add_nc_u32_e32 v19, 0xfffffc10, v21
	v_cmp_ne_u32_e64 s1, v3, v23
	s_or_b32 vcc_lo, s0, vcc_lo
	v_add_co_ci_u32_e32 v21, vcc_lo, 0, v14, vcc_lo
	v_cndmask_b32_e64 v3, 0, 1, s1
	v_cmp_ne_u32_e32 vcc_lo, 0, v16
	v_cvt_f64_f32_e32 v[14:15], v5
	v_lshl_or_b32 v5, v19, 12, v22
	v_or_b32_e32 v23, v24, v3
	v_cndmask_b32_e64 v16, 0, 1, vcc_lo
	v_cmp_gt_i32_e32 vcc_lo, 1, v19
	v_and_or_b32 v10, 0x1ff, v11, v10
	ds_read2_b32 v[2:3], v2 offset0:106 offset1:176
	v_lshrrev_b32_e32 v24, 8, v11
	v_lshl_or_b32 v16, v16, 9, 0x7c00
	v_cndmask_b32_e32 v5, v5, v23, vcc_lo
	v_cmp_gt_i32_e32 vcc_lo, 31, v18
	v_bfe_u32 v25, v11, 20, 11
	global_store_dword v[12:13], v17, off
	global_store_dword v[0:1], v20, off
	v_and_b32_e32 v23, 7, v5
	v_cndmask_b32_e32 v21, 0x7c00, v21, vcc_lo
	v_cmp_ne_u32_e32 vcc_lo, 0, v10
	v_lshrrev_b32_e32 v5, 2, v5
	v_cmp_eq_u32_e64 s0, 3, v23
	v_cndmask_b32_e64 v10, 0, 1, vcc_lo
	v_cmp_eq_u32_e32 vcc_lo, 0x40f, v18
	v_mul_f64 v[14:15], v[14:15], s[18:19]
	v_lshrrev_b32_e32 v18, 16, v33
	v_and_or_b32 v10, 0xffe, v24, v10
	v_cndmask_b32_e32 v16, v21, v16, vcc_lo
	v_cmp_lt_i32_e32 vcc_lo, 5, v23
	v_sub_nc_u32_e32 v21, 0x3f1, v25
	s_waitcnt lgkmcnt(0)
	v_lshrrev_b32_e32 v24, 16, v2
	v_or_b32_e32 v23, 0x1000, v10
	v_and_or_b32 v16, 0x8000, v18, v16
	s_or_b32 vcc_lo, s0, vcc_lo
	v_med3_i32 v21, v21, 0, 13
	v_add_co_ci_u32_e32 v5, vcc_lo, 0, v5, vcc_lo
	v_cmp_ne_u32_e32 vcc_lo, 0, v22
	s_waitcnt vmcnt(3)
	v_mul_f16_sdwa v26, v24, v6 dst_sel:DWORD dst_unused:UNUSED_PAD src0_sel:DWORD src1_sel:WORD_1
	v_lshrrev_b32_e32 v27, v21, v23
	v_and_b32_e32 v16, 0xffff, v16
	v_cndmask_b32_e64 v22, 0, 1, vcc_lo
	v_cmp_gt_i32_e32 vcc_lo, 31, v19
	v_lshlrev_b32_e32 v18, v21, v27
	v_fmac_f16_e32 v26, v2, v6
	v_and_or_b32 v14, 0x1ff, v15, v14
	v_lshl_or_b32 v22, v22, 9, 0x7c00
	v_cndmask_b32_e32 v5, 0x7c00, v5, vcc_lo
	v_cmp_eq_u32_e32 vcc_lo, 0x40f, v19
	v_cvt_f32_f16_e32 v21, v26
	v_mul_f16_sdwa v2, v2, v6 dst_sel:DWORD dst_unused:UNUSED_PAD src0_sel:DWORD src1_sel:WORD_1
	v_cndmask_b32_e32 v19, v5, v22, vcc_lo
	v_cmp_ne_u32_e32 vcc_lo, v18, v23
	v_lshrrev_b32_e32 v22, 16, v4
	v_cvt_f64_f32_e32 v[4:5], v21
	v_add_nc_u32_e32 v21, 0xfffffc10, v25
	v_lshrrev_b32_e32 v23, 8, v15
	v_cndmask_b32_e64 v18, 0, 1, vcc_lo
	v_cmp_ne_u32_e32 vcc_lo, 0, v14
	v_bfe_u32 v25, v15, 20, 11
	v_and_or_b32 v19, 0x8000, v22, v19
	v_lshl_or_b32 v22, v21, 12, v10
	v_or_b32_e32 v18, v27, v18
	v_cndmask_b32_e64 v14, 0, 1, vcc_lo
	v_cmp_gt_i32_e32 vcc_lo, 1, v21
	v_fma_f16 v2, v6, v24, -v2
	v_add_nc_u32_e32 v6, 0xfffffc10, v25
	v_lshl_or_b32 v16, v19, 16, v16
	v_and_or_b32 v14, 0xffe, v23, v14
	v_sub_nc_u32_e32 v23, 0x3f1, v25
	v_cndmask_b32_e32 v18, v22, v18, vcc_lo
	v_add_co_u32 v0, vcc_lo, v0, s17
	v_or_b32_e32 v22, 0x1000, v14
	v_med3_i32 v23, v23, 0, 13
	v_and_b32_e32 v12, 7, v18
	v_mul_f64 v[4:5], v[4:5], s[18:19]
	v_add_co_ci_u32_e32 v1, vcc_lo, s20, v1, vcc_lo
	v_lshrrev_b32_e32 v13, v23, v22
	v_cmp_lt_i32_e32 vcc_lo, 5, v12
	v_cmp_eq_u32_e64 s0, 3, v12
	v_lshrrev_b32_e32 v12, 2, v18
	v_cvt_f32_f16_e32 v2, v2
	v_lshlrev_b32_e32 v17, v23, v13
	v_lshl_or_b32 v19, v6, 12, v14
	s_or_b32 vcc_lo, s0, vcc_lo
	v_lshrrev_b32_e32 v23, 16, v11
	v_add_co_ci_u32_e32 v18, vcc_lo, 0, v12, vcc_lo
	v_cmp_ne_u32_e64 s1, v17, v22
	v_cmp_ne_u32_e32 vcc_lo, 0, v10
	global_store_dword v[0:1], v16, off
	v_cndmask_b32_e64 v17, 0, 1, s1
	v_cndmask_b32_e64 v10, 0, 1, vcc_lo
	v_cmp_gt_i32_e32 vcc_lo, 1, v6
	v_and_or_b32 v4, 0x1ff, v5, v4
	v_bfe_u32 v20, v5, 20, 11
	v_or_b32_e32 v17, v13, v17
	v_cvt_f64_f32_e32 v[12:13], v2
	v_lshl_or_b32 v10, v10, 9, 0x7c00
	v_cndmask_b32_e32 v2, v19, v17, vcc_lo
	v_cmp_gt_i32_e32 vcc_lo, 31, v21
	v_lshrrev_b32_e32 v19, 8, v5
	v_lshrrev_b32_e32 v5, 16, v5
	v_cndmask_b32_e32 v17, 0x7c00, v18, vcc_lo
	v_cmp_ne_u32_e32 vcc_lo, 0, v4
	v_and_b32_e32 v18, 7, v2
	v_lshrrev_b32_e32 v2, 2, v2
	v_cndmask_b32_e64 v4, 0, 1, vcc_lo
	v_cmp_eq_u32_e32 vcc_lo, 0x40f, v21
	v_cmp_eq_u32_e64 s0, 3, v18
	v_and_or_b32 v4, 0xffe, v19, v4
	v_cndmask_b32_e32 v17, v17, v10, vcc_lo
	v_cmp_lt_i32_e32 vcc_lo, 5, v18
	v_lshrrev_b32_e32 v18, 16, v3
	v_mul_f64 v[12:13], v[12:13], s[18:19]
	v_sub_nc_u32_e32 v10, 0x3f1, v20
	v_or_b32_e32 v19, 0x1000, v4
	s_or_b32 vcc_lo, s0, vcc_lo
	s_waitcnt vmcnt(2)
	v_mul_f16_sdwa v21, v18, v8 dst_sel:DWORD dst_unused:UNUSED_PAD src0_sel:DWORD src1_sel:WORD_1
	v_add_co_ci_u32_e32 v2, vcc_lo, 0, v2, vcc_lo
	v_med3_i32 v10, v10, 0, 13
	v_cmp_ne_u32_e32 vcc_lo, 0, v14
	v_fmac_f16_e32 v21, v3, v8
	v_mul_f16_sdwa v3, v3, v8 dst_sel:DWORD dst_unused:UNUSED_PAD src0_sel:DWORD src1_sel:WORD_1
	v_lshrrev_b32_e32 v22, v10, v19
	v_cndmask_b32_e64 v14, 0, 1, vcc_lo
	v_cmp_gt_i32_e32 vcc_lo, 31, v6
	v_cvt_f32_f16_e32 v11, v21
	v_fma_f16 v3, v8, v18, -v3
	v_lshlrev_b32_e32 v21, v10, v22
	v_lshl_or_b32 v14, v14, 9, 0x7c00
	v_cndmask_b32_e32 v2, 0x7c00, v2, vcc_lo
	v_cmp_eq_u32_e32 vcc_lo, 0x40f, v6
	v_cvt_f64_f32_e32 v[10:11], v11
	v_and_or_b32 v12, 0x1ff, v13, v12
	v_lshrrev_b32_e32 v6, 16, v15
	v_and_or_b32 v15, 0x8000, v23, v17
	v_cndmask_b32_e32 v2, v2, v14, vcc_lo
	v_cmp_ne_u32_e32 vcc_lo, v21, v19
	v_add_nc_u32_e32 v19, 0xfffffc10, v20
	v_lshrrev_b32_e32 v17, 8, v13
	v_bfe_u32 v20, v13, 20, 11
	v_and_or_b32 v2, 0x8000, v6, v2
	v_cndmask_b32_e64 v14, 0, 1, vcc_lo
	v_cmp_ne_u32_e32 vcc_lo, 0, v12
	v_and_b32_e32 v15, 0xffff, v15
	v_add_nc_u32_e32 v8, 0x800, v29
	v_lshrrev_b32_e32 v13, 16, v13
	v_or_b32_e32 v6, v22, v14
	v_lshl_or_b32 v14, v19, 12, v4
	v_cndmask_b32_e64 v12, 0, 1, vcc_lo
	v_cmp_gt_i32_e32 vcc_lo, 1, v19
	v_lshl_or_b32 v16, v2, 16, v15
	v_and_or_b32 v12, 0xffe, v17, v12
	v_cndmask_b32_e32 v6, v14, v6, vcc_lo
	v_sub_nc_u32_e32 v14, 0x3f1, v20
	v_mul_f64 v[10:11], v[10:11], s[18:19]
	v_add_co_u32 v0, vcc_lo, v0, s17
	v_or_b32_e32 v15, 0x1000, v12
	v_med3_i32 v14, v14, 0, 13
	v_and_b32_e32 v2, 7, v6
	v_add_co_ci_u32_e32 v1, vcc_lo, s20, v1, vcc_lo
	v_lshrrev_b32_e32 v17, v14, v15
	v_cmp_lt_i32_e32 vcc_lo, 5, v2
	v_cmp_eq_u32_e64 s0, 3, v2
	v_lshrrev_b32_e32 v2, 2, v6
	v_lshlrev_b32_e32 v6, v14, v17
	v_cvt_f32_f16_e32 v14, v3
	s_or_b32 vcc_lo, s0, vcc_lo
	v_add_co_ci_u32_e32 v18, vcc_lo, 0, v2, vcc_lo
	v_cmp_ne_u32_e32 vcc_lo, v6, v15
	ds_read2_b32 v[2:3], v8 offset0:118 offset1:188
	v_and_or_b32 v10, 0x1ff, v11, v10
	v_add_nc_u32_e32 v8, 0xfffffc10, v20
	v_cvt_f64_f32_e32 v[14:15], v14
	v_cndmask_b32_e64 v6, 0, 1, vcc_lo
	v_cmp_gt_i32_e32 vcc_lo, 31, v19
	v_lshrrev_b32_e32 v20, 8, v11
	v_bfe_u32 v21, v11, 20, 11
	v_or_b32_e32 v6, v17, v6
	v_cndmask_b32_e32 v18, 0x7c00, v18, vcc_lo
	v_cmp_ne_u32_e32 vcc_lo, 0, v10
	v_lshl_or_b32 v17, v8, 12, v12
	v_cndmask_b32_e64 v10, 0, 1, vcc_lo
	v_cmp_ne_u32_e32 vcc_lo, 0, v4
	v_and_or_b32 v10, 0xffe, v20, v10
	v_cndmask_b32_e64 v4, 0, 1, vcc_lo
	v_cmp_gt_i32_e32 vcc_lo, 1, v8
	s_waitcnt lgkmcnt(0)
	v_lshrrev_b32_e32 v20, 16, v2
	v_mul_f64 v[14:15], v[14:15], s[18:19]
	v_or_b32_e32 v23, 0x1000, v10
	v_lshl_or_b32 v4, v4, 9, 0x7c00
	v_cndmask_b32_e32 v6, v17, v6, vcc_lo
	v_sub_nc_u32_e32 v17, 0x3f1, v21
	v_cmp_eq_u32_e32 vcc_lo, 0x40f, v19
	s_waitcnt vmcnt(1)
	v_mul_f16_sdwa v24, v20, v7 dst_sel:DWORD dst_unused:UNUSED_PAD src0_sel:DWORD src1_sel:WORD_1
	v_add_nc_u32_e32 v21, 0xfffffc10, v21
	v_and_b32_e32 v22, 7, v6
	v_med3_i32 v17, v17, 0, 13
	v_cndmask_b32_e32 v4, v18, v4, vcc_lo
	v_fmac_f16_e32 v24, v2, v7
	v_mul_f16_sdwa v2, v2, v7 dst_sel:DWORD dst_unused:UNUSED_PAD src0_sel:DWORD src1_sel:WORD_1
	v_cmp_lt_i32_e32 vcc_lo, 5, v22
	v_lshrrev_b32_e32 v18, v17, v23
	v_cmp_eq_u32_e64 s0, 3, v22
	v_and_or_b32 v19, 0x8000, v5, v4
	v_lshrrev_b32_e32 v4, 2, v6
	v_cvt_f32_f16_e32 v6, v24
	v_lshlrev_b32_e32 v5, v17, v18
	s_or_b32 vcc_lo, s0, vcc_lo
	v_fma_f16 v2, v7, v20, -v2
	v_add_co_ci_u32_e32 v17, vcc_lo, 0, v4, vcc_lo
	v_cmp_ne_u32_e32 vcc_lo, v5, v23
	v_cvt_f64_f32_e32 v[4:5], v6
	v_and_or_b32 v14, 0x1ff, v15, v14
	v_cvt_f32_f16_e32 v2, v2
	v_cndmask_b32_e64 v22, 0, 1, vcc_lo
	v_cmp_ne_u32_e32 vcc_lo, 0, v12
	v_or_b32_e32 v12, v18, v22
	v_cndmask_b32_e64 v6, 0, 1, vcc_lo
	v_cmp_gt_i32_e32 vcc_lo, 31, v8
	v_lshl_or_b32 v18, v21, 12, v10
	v_bfe_u32 v22, v15, 20, 11
	v_lshl_or_b32 v6, v6, 9, 0x7c00
	v_cndmask_b32_e32 v17, 0x7c00, v17, vcc_lo
	v_cmp_gt_i32_e32 vcc_lo, 1, v21
	v_cndmask_b32_e32 v12, v18, v12, vcc_lo
	v_cmp_ne_u32_e32 vcc_lo, 0, v14
	v_lshrrev_b32_e32 v18, 8, v15
	v_mul_f64 v[4:5], v[4:5], s[18:19]
	v_lshrrev_b32_e32 v15, 16, v15
	v_and_b32_e32 v23, 7, v12
	v_cndmask_b32_e64 v14, 0, 1, vcc_lo
	v_cmp_eq_u32_e32 vcc_lo, 0x40f, v8
	v_lshrrev_b32_e32 v12, 2, v12
	v_cmp_eq_u32_e64 s0, 3, v23
	v_and_or_b32 v8, 0xffe, v18, v14
	v_sub_nc_u32_e32 v14, 0x3f1, v22
	v_cndmask_b32_e32 v6, v17, v6, vcc_lo
	v_cmp_lt_i32_e32 vcc_lo, 5, v23
	v_or_b32_e32 v17, 0x1000, v8
	v_med3_i32 v14, v14, 0, 13
	v_and_or_b32 v6, 0x8000, v13, v6
	s_or_b32 vcc_lo, s0, vcc_lo
	v_and_b32_e32 v13, 0xffff, v19
	v_add_co_ci_u32_e32 v12, vcc_lo, 0, v12, vcc_lo
	v_lshrrev_b32_e32 v18, v14, v17
	v_cmp_ne_u32_e32 vcc_lo, 0, v10
	v_lshl_or_b32 v19, v6, 16, v13
	v_and_or_b32 v4, 0x1ff, v5, v4
	v_lshlrev_b32_e32 v6, v14, v18
	v_cndmask_b32_e64 v10, 0, 1, vcc_lo
	v_cmp_gt_i32_e32 vcc_lo, 31, v21
	v_add_nc_u32_e32 v14, 0xfffffc10, v22
	v_lshl_or_b32 v10, v10, 9, 0x7c00
	v_cndmask_b32_e32 v12, 0x7c00, v12, vcc_lo
	v_cmp_ne_u32_e32 vcc_lo, v6, v17
	v_lshl_or_b32 v13, v14, 12, v8
	v_lshrrev_b32_e32 v17, 8, v5
	v_cndmask_b32_e64 v6, 0, 1, vcc_lo
	v_cmp_eq_u32_e32 vcc_lo, 0x40f, v21
	v_cndmask_b32_e32 v12, v12, v10, vcc_lo
	v_cmp_ne_u32_e32 vcc_lo, 0, v4
	v_or_b32_e32 v10, v18, v6
	v_bfe_u32 v18, v5, 20, 11
	v_cvt_f64_f32_e32 v[6:7], v2
	v_lshrrev_b32_e32 v5, 16, v5
	v_cndmask_b32_e64 v4, 0, 1, vcc_lo
	v_cmp_gt_i32_e32 vcc_lo, 1, v14
	v_and_or_b32 v4, 0xffe, v17, v4
	v_cndmask_b32_e32 v2, v13, v10, vcc_lo
	v_sub_nc_u32_e32 v10, 0x3f1, v18
	v_lshrrev_b32_e32 v17, 16, v3
	v_lshrrev_b32_e32 v13, 16, v11
	v_or_b32_e32 v21, 0x1000, v4
	v_and_b32_e32 v20, 7, v2
	v_med3_i32 v22, v10, 0, 13
	s_waitcnt vmcnt(0)
	v_mul_f16_sdwa v23, v17, v9 dst_sel:DWORD dst_unused:UNUSED_PAD src0_sel:DWORD src1_sel:WORD_1
	v_add_co_u32 v10, vcc_lo, v0, s17
	v_add_co_ci_u32_e32 v11, vcc_lo, s20, v1, vcc_lo
	v_lshrrev_b32_e32 v25, v22, v21
	v_cmp_lt_i32_e32 vcc_lo, 5, v20
	v_cmp_eq_u32_e64 s0, 3, v20
	v_fmac_f16_e32 v23, v3, v9
	v_lshrrev_b32_e32 v2, 2, v2
	v_lshlrev_b32_e32 v20, v22, v25
	v_and_or_b32 v24, 0x8000, v13, v12
	s_or_b32 vcc_lo, s0, vcc_lo
	v_cvt_f32_f16_e32 v12, v23
	v_add_co_ci_u32_e32 v2, vcc_lo, 0, v2, vcc_lo
	v_mul_f64 v[6:7], v[6:7], s[18:19]
	v_cmp_ne_u32_e32 vcc_lo, v20, v21
	v_cvt_f64_f32_e32 v[12:13], v12
	v_add_nc_u32_e32 v18, 0xfffffc10, v18
	v_mul_f16_sdwa v3, v3, v9 dst_sel:DWORD dst_unused:UNUSED_PAD src0_sel:DWORD src1_sel:WORD_1
	v_cndmask_b32_e64 v20, 0, 1, vcc_lo
	v_cmp_ne_u32_e32 vcc_lo, 0, v8
	v_lshl_or_b32 v21, v18, 12, v4
	v_fma_f16 v3, v9, v17, -v3
	v_or_b32_e32 v20, v25, v20
	v_cndmask_b32_e64 v8, 0, 1, vcc_lo
	v_cmp_gt_i32_e32 vcc_lo, 31, v14
	v_cvt_f32_f16_e32 v3, v3
	v_lshl_or_b32 v8, v8, 9, 0x7c00
	v_cndmask_b32_e32 v2, 0x7c00, v2, vcc_lo
	v_cmp_gt_i32_e32 vcc_lo, 1, v18
	v_and_or_b32 v6, 0x1ff, v7, v6
	v_cndmask_b32_e32 v17, v21, v20, vcc_lo
	v_cmp_eq_u32_e32 vcc_lo, 0x40f, v14
	v_and_b32_e32 v20, 7, v17
	v_cndmask_b32_e32 v14, v2, v8, vcc_lo
	v_mul_f64 v[8:9], v[12:13], s[18:19]
	v_cvt_f64_f32_e32 v[2:3], v3
	v_cmp_ne_u32_e32 vcc_lo, 0, v6
	v_lshrrev_b32_e32 v12, 8, v7
	v_and_or_b32 v14, 0x8000, v15, v14
	v_and_b32_e32 v15, 0xffff, v24
	v_bfe_u32 v13, v7, 20, 11
	v_cndmask_b32_e64 v6, 0, 1, vcc_lo
	v_cmp_lt_i32_e32 vcc_lo, 5, v20
	v_cmp_eq_u32_e64 s0, 3, v20
	v_lshl_or_b32 v14, v14, 16, v15
	v_lshrrev_b32_e32 v15, 2, v17
	v_and_or_b32 v6, 0xffe, v12, v6
	v_sub_nc_u32_e32 v12, 0x3f1, v13
	s_or_b32 vcc_lo, s0, vcc_lo
	v_add_nc_u32_e32 v13, 0xfffffc10, v13
	v_add_co_ci_u32_e32 v15, vcc_lo, 0, v15, vcc_lo
	v_or_b32_e32 v17, 0x1000, v6
	v_med3_i32 v12, v12, 0, 13
	v_cmp_ne_u32_e32 vcc_lo, 0, v4
	v_lshrrev_b32_e32 v7, 16, v7
	v_and_or_b32 v8, 0x1ff, v9, v8
	v_mul_f64 v[2:3], v[2:3], s[18:19]
	v_lshrrev_b32_e32 v20, v12, v17
	v_cndmask_b32_e64 v4, 0, 1, vcc_lo
	v_cmp_gt_i32_e32 vcc_lo, 31, v18
	v_lshrrev_b32_e32 v21, 8, v9
	v_bfe_u32 v22, v9, 20, 11
	v_lshlrev_b32_e32 v12, v12, v20
	v_lshl_or_b32 v4, v4, 9, 0x7c00
	v_cndmask_b32_e32 v15, 0x7c00, v15, vcc_lo
	v_cmp_ne_u32_e32 vcc_lo, 0, v8
	v_lshrrev_b32_e32 v9, 16, v9
	v_cndmask_b32_e64 v8, 0, 1, vcc_lo
	v_cmp_ne_u32_e32 vcc_lo, v12, v17
	v_sub_nc_u32_e32 v17, 0x3f1, v22
	v_and_or_b32 v8, 0xffe, v21, v8
	v_cndmask_b32_e64 v12, 0, 1, vcc_lo
	v_cmp_eq_u32_e32 vcc_lo, 0x40f, v18
	v_med3_i32 v17, v17, 0, 13
	v_and_or_b32 v2, 0x1ff, v3, v2
	v_or_b32_e32 v18, 0x1000, v8
	v_or_b32_e32 v12, v20, v12
	v_cndmask_b32_e32 v4, v15, v4, vcc_lo
	v_lshl_or_b32 v15, v13, 12, v6
	v_cmp_gt_i32_e32 vcc_lo, 1, v13
	v_lshrrev_b32_e32 v20, 8, v3
	v_bfe_u32 v21, v3, 20, 11
	v_and_or_b32 v4, 0x8000, v5, v4
	v_cndmask_b32_e32 v12, v15, v12, vcc_lo
	v_lshrrev_b32_e32 v15, v17, v18
	v_cmp_ne_u32_e32 vcc_lo, 0, v2
	v_sub_nc_u32_e32 v5, 0x3f1, v21
	v_and_b32_e32 v4, 0xffff, v4
	v_and_b32_e32 v23, 7, v12
	v_lshlrev_b32_e32 v17, v17, v15
	v_cndmask_b32_e64 v2, 0, 1, vcc_lo
	v_lshrrev_b32_e32 v12, 2, v12
	v_med3_i32 v5, v5, 0, 13
	v_cmp_lt_i32_e32 vcc_lo, 5, v23
	v_cmp_ne_u32_e64 s0, v17, v18
	v_and_or_b32 v2, 0xffe, v20, v2
	v_add_nc_u32_e32 v20, 0xfffffc10, v22
	v_cndmask_b32_e64 v17, 0, 1, s0
	v_cmp_eq_u32_e64 s0, 3, v23
	v_or_b32_e32 v18, 0x1000, v2
	v_lshl_or_b32 v22, v20, 12, v8
	v_or_b32_e32 v15, v15, v17
	s_or_b32 vcc_lo, s0, vcc_lo
	v_lshrrev_b32_e32 v17, v5, v18
	v_add_co_ci_u32_e32 v12, vcc_lo, 0, v12, vcc_lo
	v_cmp_gt_i32_e32 vcc_lo, 1, v20
	v_lshlrev_b32_e32 v5, v5, v17
	v_cndmask_b32_e32 v15, v22, v15, vcc_lo
	v_cmp_ne_u32_e32 vcc_lo, 0, v6
	v_cndmask_b32_e64 v6, 0, 1, vcc_lo
	v_cmp_ne_u32_e32 vcc_lo, v5, v18
	v_add_nc_u32_e32 v18, 0xfffffc10, v21
	v_and_b32_e32 v21, 7, v15
	v_lshl_or_b32 v6, v6, 9, 0x7c00
	v_cndmask_b32_e64 v5, 0, 1, vcc_lo
	v_cmp_gt_i32_e32 vcc_lo, 31, v13
	v_cmp_gt_i32_e64 s1, 1, v18
	v_cmp_eq_u32_e64 s0, 3, v21
	v_or_b32_e32 v5, v17, v5
	v_lshl_or_b32 v17, v18, 12, v2
	v_cndmask_b32_e32 v12, 0x7c00, v12, vcc_lo
	v_cmp_lt_i32_e32 vcc_lo, 5, v21
	v_cndmask_b32_e64 v5, v17, v5, s1
	v_cmp_eq_u32_e64 s1, 0x40f, v13
	s_or_b32 vcc_lo, s0, vcc_lo
	v_and_b32_e32 v13, 7, v5
	v_cndmask_b32_e64 v6, v12, v6, s1
	v_lshrrev_b32_e32 v12, 2, v15
	v_lshrrev_b32_e32 v5, 2, v5
	v_cmp_gt_i32_e64 s1, 31, v20
	v_cmp_eq_u32_e64 s0, 3, v13
	v_and_or_b32 v6, 0x8000, v7, v6
	v_add_co_ci_u32_e32 v12, vcc_lo, 0, v12, vcc_lo
	v_cmp_ne_u32_e32 vcc_lo, 0, v8
	v_cndmask_b32_e64 v12, 0x7c00, v12, s1
	v_cndmask_b32_e64 v8, 0, 1, vcc_lo
	v_cmp_lt_i32_e32 vcc_lo, 5, v13
	v_lshl_or_b32 v8, v8, 9, 0x7c00
	s_or_b32 vcc_lo, s0, vcc_lo
	v_add_co_ci_u32_e32 v5, vcc_lo, 0, v5, vcc_lo
	v_cmp_ne_u32_e32 vcc_lo, 0, v2
	v_cndmask_b32_e64 v2, 0, 1, vcc_lo
	v_cmp_eq_u32_e32 vcc_lo, 0x40f, v20
	v_lshl_or_b32 v2, v2, 9, 0x7c00
	v_cndmask_b32_e32 v8, v12, v8, vcc_lo
	v_cmp_gt_i32_e32 vcc_lo, 31, v18
	v_and_or_b32 v7, 0x8000, v9, v8
	v_cndmask_b32_e32 v5, 0x7c00, v5, vcc_lo
	v_cmp_eq_u32_e32 vcc_lo, 0x40f, v18
	v_lshrrev_b32_e32 v8, 16, v3
	v_lshl_or_b32 v9, v6, 16, v4
	v_and_b32_e32 v7, 0xffff, v7
	v_cndmask_b32_e32 v5, v5, v2, vcc_lo
	v_add_co_u32 v2, vcc_lo, v10, s17
	v_add_co_ci_u32_e32 v3, vcc_lo, s20, v11, vcc_lo
	v_and_or_b32 v6, 0x8000, v8, v5
	v_add_co_u32 v4, vcc_lo, v2, s17
	v_add_co_ci_u32_e32 v5, vcc_lo, s20, v3, vcc_lo
	v_lshl_or_b32 v8, v6, 16, v7
	v_add_co_u32 v6, vcc_lo, v4, s17
	v_add_co_ci_u32_e32 v7, vcc_lo, s20, v5, vcc_lo
	global_store_dword v[0:1], v16, off
	global_store_dword v[10:11], v19, off
	;; [unrolled: 1-line block ×5, first 2 shown]
.LBB0_23:
	s_endpgm
	.section	.rodata,"a",@progbits
	.p2align	6, 0x0
	.amdhsa_kernel bluestein_single_fwd_len770_dim1_half_op_CI_CI
		.amdhsa_group_segment_fixed_size 6160
		.amdhsa_private_segment_fixed_size 0
		.amdhsa_kernarg_size 104
		.amdhsa_user_sgpr_count 6
		.amdhsa_user_sgpr_private_segment_buffer 1
		.amdhsa_user_sgpr_dispatch_ptr 0
		.amdhsa_user_sgpr_queue_ptr 0
		.amdhsa_user_sgpr_kernarg_segment_ptr 1
		.amdhsa_user_sgpr_dispatch_id 0
		.amdhsa_user_sgpr_flat_scratch_init 0
		.amdhsa_user_sgpr_private_segment_size 0
		.amdhsa_wavefront_size32 1
		.amdhsa_uses_dynamic_stack 0
		.amdhsa_system_sgpr_private_segment_wavefront_offset 0
		.amdhsa_system_sgpr_workgroup_id_x 1
		.amdhsa_system_sgpr_workgroup_id_y 0
		.amdhsa_system_sgpr_workgroup_id_z 0
		.amdhsa_system_sgpr_workgroup_info 0
		.amdhsa_system_vgpr_workitem_id 0
		.amdhsa_next_free_vgpr 103
		.amdhsa_next_free_sgpr 21
		.amdhsa_reserve_vcc 1
		.amdhsa_reserve_flat_scratch 0
		.amdhsa_float_round_mode_32 0
		.amdhsa_float_round_mode_16_64 0
		.amdhsa_float_denorm_mode_32 3
		.amdhsa_float_denorm_mode_16_64 3
		.amdhsa_dx10_clamp 1
		.amdhsa_ieee_mode 1
		.amdhsa_fp16_overflow 0
		.amdhsa_workgroup_processor_mode 1
		.amdhsa_memory_ordered 1
		.amdhsa_forward_progress 0
		.amdhsa_shared_vgpr_count 0
		.amdhsa_exception_fp_ieee_invalid_op 0
		.amdhsa_exception_fp_denorm_src 0
		.amdhsa_exception_fp_ieee_div_zero 0
		.amdhsa_exception_fp_ieee_overflow 0
		.amdhsa_exception_fp_ieee_underflow 0
		.amdhsa_exception_fp_ieee_inexact 0
		.amdhsa_exception_int_div_zero 0
	.end_amdhsa_kernel
	.text
.Lfunc_end0:
	.size	bluestein_single_fwd_len770_dim1_half_op_CI_CI, .Lfunc_end0-bluestein_single_fwd_len770_dim1_half_op_CI_CI
                                        ; -- End function
	.section	.AMDGPU.csdata,"",@progbits
; Kernel info:
; codeLenInByte = 17988
; NumSgprs: 23
; NumVgprs: 103
; ScratchSize: 0
; MemoryBound: 0
; FloatMode: 240
; IeeeMode: 1
; LDSByteSize: 6160 bytes/workgroup (compile time only)
; SGPRBlocks: 2
; VGPRBlocks: 12
; NumSGPRsForWavesPerEU: 23
; NumVGPRsForWavesPerEU: 103
; Occupancy: 9
; WaveLimiterHint : 1
; COMPUTE_PGM_RSRC2:SCRATCH_EN: 0
; COMPUTE_PGM_RSRC2:USER_SGPR: 6
; COMPUTE_PGM_RSRC2:TRAP_HANDLER: 0
; COMPUTE_PGM_RSRC2:TGID_X_EN: 1
; COMPUTE_PGM_RSRC2:TGID_Y_EN: 0
; COMPUTE_PGM_RSRC2:TGID_Z_EN: 0
; COMPUTE_PGM_RSRC2:TIDIG_COMP_CNT: 0
	.text
	.p2alignl 6, 3214868480
	.fill 48, 4, 3214868480
	.type	__hip_cuid_b8244bd5315b0b3,@object ; @__hip_cuid_b8244bd5315b0b3
	.section	.bss,"aw",@nobits
	.globl	__hip_cuid_b8244bd5315b0b3
__hip_cuid_b8244bd5315b0b3:
	.byte	0                               ; 0x0
	.size	__hip_cuid_b8244bd5315b0b3, 1

	.ident	"AMD clang version 19.0.0git (https://github.com/RadeonOpenCompute/llvm-project roc-6.4.0 25133 c7fe45cf4b819c5991fe208aaa96edf142730f1d)"
	.section	".note.GNU-stack","",@progbits
	.addrsig
	.addrsig_sym __hip_cuid_b8244bd5315b0b3
	.amdgpu_metadata
---
amdhsa.kernels:
  - .args:
      - .actual_access:  read_only
        .address_space:  global
        .offset:         0
        .size:           8
        .value_kind:     global_buffer
      - .actual_access:  read_only
        .address_space:  global
        .offset:         8
        .size:           8
        .value_kind:     global_buffer
      - .actual_access:  read_only
        .address_space:  global
        .offset:         16
        .size:           8
        .value_kind:     global_buffer
      - .actual_access:  read_only
        .address_space:  global
        .offset:         24
        .size:           8
        .value_kind:     global_buffer
      - .actual_access:  read_only
        .address_space:  global
        .offset:         32
        .size:           8
        .value_kind:     global_buffer
      - .offset:         40
        .size:           8
        .value_kind:     by_value
      - .address_space:  global
        .offset:         48
        .size:           8
        .value_kind:     global_buffer
      - .address_space:  global
        .offset:         56
        .size:           8
        .value_kind:     global_buffer
      - .address_space:  global
        .offset:         64
        .size:           8
        .value_kind:     global_buffer
      - .address_space:  global
        .offset:         72
        .size:           8
        .value_kind:     global_buffer
      - .offset:         80
        .size:           4
        .value_kind:     by_value
      - .address_space:  global
        .offset:         88
        .size:           8
        .value_kind:     global_buffer
      - .address_space:  global
        .offset:         96
        .size:           8
        .value_kind:     global_buffer
    .group_segment_fixed_size: 6160
    .kernarg_segment_align: 8
    .kernarg_segment_size: 104
    .language:       OpenCL C
    .language_version:
      - 2
      - 0
    .max_flat_workgroup_size: 220
    .name:           bluestein_single_fwd_len770_dim1_half_op_CI_CI
    .private_segment_fixed_size: 0
    .sgpr_count:     23
    .sgpr_spill_count: 0
    .symbol:         bluestein_single_fwd_len770_dim1_half_op_CI_CI.kd
    .uniform_work_group_size: 1
    .uses_dynamic_stack: false
    .vgpr_count:     103
    .vgpr_spill_count: 0
    .wavefront_size: 32
    .workgroup_processor_mode: 1
amdhsa.target:   amdgcn-amd-amdhsa--gfx1030
amdhsa.version:
  - 1
  - 2
...

	.end_amdgpu_metadata
